;; amdgpu-corpus repo=ROCm/rocFFT kind=compiled arch=gfx1201 opt=O3
	.text
	.amdgcn_target "amdgcn-amd-amdhsa--gfx1201"
	.amdhsa_code_object_version 6
	.protected	fft_rtc_fwd_len216_factors_2_2_3_3_6_wgs_144_tpt_18_dim3_sp_ip_CI_sbcc_twdbase8_3step_dirReg ; -- Begin function fft_rtc_fwd_len216_factors_2_2_3_3_6_wgs_144_tpt_18_dim3_sp_ip_CI_sbcc_twdbase8_3step_dirReg
	.globl	fft_rtc_fwd_len216_factors_2_2_3_3_6_wgs_144_tpt_18_dim3_sp_ip_CI_sbcc_twdbase8_3step_dirReg
	.p2align	8
	.type	fft_rtc_fwd_len216_factors_2_2_3_3_6_wgs_144_tpt_18_dim3_sp_ip_CI_sbcc_twdbase8_3step_dirReg,@function
fft_rtc_fwd_len216_factors_2_2_3_3_6_wgs_144_tpt_18_dim3_sp_ip_CI_sbcc_twdbase8_3step_dirReg: ; @fft_rtc_fwd_len216_factors_2_2_3_3_6_wgs_144_tpt_18_dim3_sp_ip_CI_sbcc_twdbase8_3step_dirReg
; %bb.0:
	s_load_b128 s[8:11], s[0:1], 0x10
	s_mov_b32 s14, ttmp9
	s_mov_b32 s15, 0
	s_mov_b64 s[18:19], 0
	s_wait_kmcnt 0x0
	s_load_b64 s[12:13], s[8:9], 0x8
	s_wait_kmcnt 0x0
	s_add_nc_u64 s[2:3], s[12:13], -1
	s_delay_alu instid0(SALU_CYCLE_1) | instskip(NEXT) | instid1(SALU_CYCLE_1)
	s_lshr_b64 s[2:3], s[2:3], 3
	s_add_nc_u64 s[16:17], s[2:3], 1
	s_delay_alu instid0(SALU_CYCLE_1) | instskip(NEXT) | instid1(VALU_DEP_1)
	v_cmp_lt_u64_e64 s2, s[14:15], s[16:17]
	s_and_b32 vcc_lo, exec_lo, s2
	s_cbranch_vccnz .LBB0_2
; %bb.1:
	v_cvt_f32_u32_e32 v1, s16
	s_sub_co_i32 s3, 0, s16
	s_mov_b32 s19, s15
	s_delay_alu instid0(VALU_DEP_1) | instskip(NEXT) | instid1(TRANS32_DEP_1)
	v_rcp_iflag_f32_e32 v1, v1
	v_mul_f32_e32 v1, 0x4f7ffffe, v1
	s_delay_alu instid0(VALU_DEP_1) | instskip(NEXT) | instid1(VALU_DEP_1)
	v_cvt_u32_f32_e32 v1, v1
	v_readfirstlane_b32 s2, v1
	s_delay_alu instid0(VALU_DEP_1) | instskip(NEXT) | instid1(SALU_CYCLE_1)
	s_mul_i32 s3, s3, s2
	s_mul_hi_u32 s3, s2, s3
	s_delay_alu instid0(SALU_CYCLE_1) | instskip(NEXT) | instid1(SALU_CYCLE_1)
	s_add_co_i32 s2, s2, s3
	s_mul_hi_u32 s2, s14, s2
	s_delay_alu instid0(SALU_CYCLE_1) | instskip(SKIP_2) | instid1(SALU_CYCLE_1)
	s_mul_i32 s3, s2, s16
	s_add_co_i32 s4, s2, 1
	s_sub_co_i32 s3, s14, s3
	s_sub_co_i32 s5, s3, s16
	s_cmp_ge_u32 s3, s16
	s_cselect_b32 s2, s4, s2
	s_cselect_b32 s3, s5, s3
	s_add_co_i32 s4, s2, 1
	s_cmp_ge_u32 s3, s16
	s_cselect_b32 s18, s4, s2
.LBB0_2:
	s_load_b64 s[2:3], s[8:9], 0x10
	s_mov_b64 s[8:9], s[18:19]
	s_wait_kmcnt 0x0
	v_cmp_lt_u64_e64 s4, s[18:19], s[2:3]
	s_delay_alu instid0(VALU_DEP_1)
	s_and_b32 vcc_lo, exec_lo, s4
	s_cbranch_vccnz .LBB0_4
; %bb.3:
	v_cvt_f32_u32_e32 v1, s2
	s_sub_co_i32 s5, 0, s2
	s_mov_b32 s9, 0
	s_delay_alu instid0(VALU_DEP_1) | instskip(NEXT) | instid1(TRANS32_DEP_1)
	v_rcp_iflag_f32_e32 v1, v1
	v_mul_f32_e32 v1, 0x4f7ffffe, v1
	s_delay_alu instid0(VALU_DEP_1) | instskip(NEXT) | instid1(VALU_DEP_1)
	v_cvt_u32_f32_e32 v1, v1
	v_readfirstlane_b32 s4, v1
	s_delay_alu instid0(VALU_DEP_1) | instskip(NEXT) | instid1(SALU_CYCLE_1)
	s_mul_i32 s5, s5, s4
	s_mul_hi_u32 s5, s4, s5
	s_delay_alu instid0(SALU_CYCLE_1) | instskip(NEXT) | instid1(SALU_CYCLE_1)
	s_add_co_i32 s4, s4, s5
	s_mul_hi_u32 s4, s18, s4
	s_delay_alu instid0(SALU_CYCLE_1) | instskip(NEXT) | instid1(SALU_CYCLE_1)
	s_mul_i32 s4, s4, s2
	s_sub_co_i32 s4, s18, s4
	s_delay_alu instid0(SALU_CYCLE_1) | instskip(SKIP_2) | instid1(SALU_CYCLE_1)
	s_sub_co_i32 s5, s4, s2
	s_cmp_ge_u32 s4, s2
	s_cselect_b32 s4, s5, s4
	s_sub_co_i32 s5, s4, s2
	s_cmp_ge_u32 s4, s2
	s_cselect_b32 s8, s5, s4
.LBB0_4:
	s_clause 0x1
	s_load_b128 s[4:7], s[10:11], 0x0
	s_load_b64 s[20:21], s[10:11], 0x10
	s_mul_u64 s[2:3], s[2:3], s[16:17]
	s_mov_b64 s[22:23], 0
	s_wait_alu 0xfffe
	v_cmp_lt_u64_e64 s3, s[14:15], s[2:3]
	s_delay_alu instid0(VALU_DEP_1)
	s_and_b32 vcc_lo, exec_lo, s3
	s_cbranch_vccnz .LBB0_6
; %bb.5:
	v_cvt_f32_u32_e32 v1, s2
	s_sub_co_i32 s22, 0, s2
	s_delay_alu instid0(VALU_DEP_1) | instskip(NEXT) | instid1(TRANS32_DEP_1)
	v_rcp_iflag_f32_e32 v1, v1
	v_mul_f32_e32 v1, 0x4f7ffffe, v1
	s_delay_alu instid0(VALU_DEP_1) | instskip(NEXT) | instid1(VALU_DEP_1)
	v_cvt_u32_f32_e32 v1, v1
	v_readfirstlane_b32 s3, v1
	s_delay_alu instid0(VALU_DEP_1) | instskip(NEXT) | instid1(SALU_CYCLE_1)
	s_mul_i32 s22, s22, s3
	s_mul_hi_u32 s22, s3, s22
	s_delay_alu instid0(SALU_CYCLE_1)
	s_add_co_i32 s3, s3, s22
	s_wait_alu 0xfffe
	s_mul_hi_u32 s3, s14, s3
	s_wait_alu 0xfffe
	s_mul_i32 s22, s3, s2
	s_add_co_i32 s23, s3, 1
	s_sub_co_i32 s22, s14, s22
	s_delay_alu instid0(SALU_CYCLE_1)
	s_sub_co_i32 s24, s22, s2
	s_cmp_ge_u32 s22, s2
	s_cselect_b32 s3, s23, s3
	s_cselect_b32 s22, s24, s22
	s_wait_alu 0xfffe
	s_add_co_i32 s24, s3, 1
	s_cmp_ge_u32 s22, s2
	s_mov_b32 s23, 0
	s_cselect_b32 s22, s24, s3
.LBB0_6:
	s_load_b64 s[24:25], s[10:11], 0x18
	s_clause 0x1
	s_load_b64 s[10:11], s[0:1], 0x0
	s_load_b64 s[2:3], s[0:1], 0x50
	s_mul_u64 s[16:17], s[18:19], s[16:17]
	v_and_b32_e32 v28, 7, v0
	s_wait_alu 0xfffe
	s_sub_nc_u64 s[14:15], s[14:15], s[16:17]
	s_wait_kmcnt 0x0
	s_mul_u64 s[8:9], s[20:21], s[8:9]
	s_wait_alu 0xfffe
	s_lshl_b64 s[14:15], s[14:15], 3
	v_lshrrev_b32_e32 v27, 3, v0
	s_wait_alu 0xfffe
	s_add_nc_u64 s[16:17], s[14:15], 8
	s_mul_u64 s[18:19], s[6:7], s[14:15]
	s_wait_alu 0xfffe
	v_cmp_gt_u64_e64 s20, s[16:17], s[12:13]
	v_or_b32_e32 v1, s14, v28
	v_cmp_le_u64_e64 s14, s[16:17], s[12:13]
	v_mov_b32_e32 v2, s15
	s_add_nc_u64 s[8:9], s[8:9], s[18:19]
	s_delay_alu instid0(VALU_DEP_4)
	s_and_b32 vcc_lo, exec_lo, s20
	s_mul_u64 s[16:17], s[24:25], s[22:23]
	s_wait_alu 0xfffe
	s_add_nc_u64 s[8:9], s[16:17], s[8:9]
	s_cbranch_vccz .LBB0_12
; %bb.7:
	s_mov_b32 s15, exec_lo
                                        ; implicit-def: $vgpr29
                                        ; implicit-def: $vgpr30
                                        ; implicit-def: $vgpr31
                                        ; implicit-def: $vgpr32
                                        ; implicit-def: $vgpr33
	v_cmpx_le_u64_e64 s[12:13], v[1:2]
	s_wait_alu 0xfffe
	s_xor_b32 s15, exec_lo, s15
; %bb.8:
	v_add_nc_u32_e32 v29, 18, v27
	v_add_nc_u32_e32 v30, 36, v27
	;; [unrolled: 1-line block ×5, first 2 shown]
; %bb.9:
	s_wait_alu 0xfffe
	s_or_saveexec_b32 s15, s15
                                        ; implicit-def: $vgpr3
                                        ; implicit-def: $vgpr5
                                        ; implicit-def: $vgpr17
                                        ; implicit-def: $vgpr21
                                        ; implicit-def: $vgpr15
                                        ; implicit-def: $vgpr19
                                        ; implicit-def: $vgpr11
                                        ; implicit-def: $vgpr13
                                        ; implicit-def: $vgpr23
                                        ; implicit-def: $vgpr25
                                        ; implicit-def: $vgpr7
                                        ; implicit-def: $vgpr9
	s_wait_alu 0xfffe
	s_xor_b32 exec_lo, exec_lo, s15
	s_cbranch_execz .LBB0_11
; %bb.10:
	v_mad_co_u64_u32 v[3:4], null, s6, v28, 0
	v_mad_co_u64_u32 v[5:6], null, s4, v27, 0
	v_add_nc_u32_e32 v17, 0x7e, v27
	s_lshl_b64 s[16:17], s[8:9], 3
	v_add_nc_u32_e32 v31, 54, v27
	s_wait_alu 0xfffe
	s_add_nc_u64 s[16:17], s[2:3], s[16:17]
	v_add_nc_u32_e32 v33, 0x5a, v27
	v_add_nc_u32_e32 v41, 0xc6, v27
	v_mad_co_u64_u32 v[7:8], null, s7, v28, v[4:5]
	v_add_nc_u32_e32 v15, 0x6c, v27
	v_mad_co_u64_u32 v[18:19], null, s4, v31, 0
	v_add_nc_u32_e32 v30, 36, v27
	v_add_nc_u32_e32 v20, 0x90, v27
	;; [unrolled: 1-line block ×3, first 2 shown]
	v_mov_b32_e32 v4, v7
	v_mad_co_u64_u32 v[12:13], null, s5, v27, v[6:7]
	v_add_nc_u32_e32 v29, 18, v27
	v_mad_co_u64_u32 v[8:9], null, s4, v15, 0
	s_delay_alu instid0(VALU_DEP_4)
	v_lshlrev_b64_e32 v[3:4], 3, v[3:4]
	v_mad_co_u64_u32 v[13:14], null, s4, v17, 0
	v_mov_b32_e32 v6, v12
	v_mad_co_u64_u32 v[10:11], null, s4, v29, 0
	v_mov_b32_e32 v7, v9
	s_wait_alu 0xfffe
	v_add_co_u32 v43, vcc_lo, s16, v3
	v_lshlrev_b64_e32 v[5:6], 3, v[5:6]
	v_add_co_ci_u32_e32 v44, vcc_lo, s17, v4, vcc_lo
	v_mov_b32_e32 v9, v11
	v_mad_co_u64_u32 v[11:12], null, s5, v15, v[7:8]
	s_delay_alu instid0(VALU_DEP_4) | instskip(NEXT) | instid1(VALU_DEP_3)
	v_add_co_u32 v3, vcc_lo, v43, v5
	v_mad_co_u64_u32 v[15:16], null, s5, v29, v[9:10]
	s_wait_alu 0xfffd
	v_add_co_ci_u32_e32 v4, vcc_lo, v44, v6, vcc_lo
	s_delay_alu instid0(VALU_DEP_4) | instskip(SKIP_1) | instid1(VALU_DEP_4)
	v_mov_b32_e32 v9, v11
	v_dual_mov_b32 v5, v14 :: v_dual_add_nc_u32 v32, 0x48, v27
	v_dual_mov_b32 v11, v15 :: v_dual_add_nc_u32 v34, 0xb4, v27
	s_delay_alu instid0(VALU_DEP_3) | instskip(NEXT) | instid1(VALU_DEP_1)
	v_lshlrev_b64_e32 v[6:7], 3, v[8:9]
	v_mad_co_u64_u32 v[8:9], null, s5, v17, v[5:6]
	s_delay_alu instid0(VALU_DEP_3)
	v_lshlrev_b64_e32 v[9:10], 3, v[10:11]
	v_mad_co_u64_u32 v[11:12], null, s4, v30, 0
	v_add_co_u32 v5, vcc_lo, v43, v6
	s_wait_alu 0xfffd
	v_add_co_ci_u32_e32 v6, vcc_lo, v44, v7, vcc_lo
	v_mov_b32_e32 v14, v8
	v_add_co_u32 v7, vcc_lo, v43, v9
	v_mov_b32_e32 v9, v12
	s_wait_alu 0xfffd
	v_add_co_ci_u32_e32 v8, vcc_lo, v44, v10, vcc_lo
	v_lshlrev_b64_e32 v[12:13], 3, v[13:14]
	v_mad_co_u64_u32 v[14:15], null, s4, v20, 0
	v_mad_co_u64_u32 v[9:10], null, s5, v30, v[9:10]
	s_delay_alu instid0(VALU_DEP_3) | instskip(SKIP_1) | instid1(VALU_DEP_4)
	v_add_co_u32 v16, vcc_lo, v43, v12
	s_wait_alu 0xfffd
	v_add_co_ci_u32_e32 v17, vcc_lo, v44, v13, vcc_lo
	s_delay_alu instid0(VALU_DEP_4) | instskip(NEXT) | instid1(VALU_DEP_4)
	v_dual_mov_b32 v10, v15 :: v_dual_mov_b32 v13, v19
	v_mov_b32_e32 v12, v9
	s_delay_alu instid0(VALU_DEP_2)
	v_mad_co_u64_u32 v[20:21], null, s5, v20, v[10:11]
	s_clause 0x3
	global_load_b64 v[9:10], v[3:4], off
	global_load_b64 v[3:4], v[5:6], off
	;; [unrolled: 1-line block ×4, first 2 shown]
	v_mad_co_u64_u32 v[16:17], null, s5, v31, v[13:14]
	v_lshlrev_b64_e32 v[11:12], 3, v[11:12]
	v_mov_b32_e32 v15, v20
	v_mad_co_u64_u32 v[20:21], null, s4, v22, 0
	s_delay_alu instid0(VALU_DEP_4) | instskip(SKIP_1) | instid1(VALU_DEP_4)
	v_mov_b32_e32 v19, v16
	v_mad_co_u64_u32 v[16:17], null, s4, v32, 0
	v_lshlrev_b64_e32 v[13:14], 3, v[14:15]
	v_add_co_u32 v11, vcc_lo, v43, v11
	v_mov_b32_e32 v15, v21
	s_wait_alu 0xfffd
	v_add_co_ci_u32_e32 v12, vcc_lo, v44, v12, vcc_lo
	s_delay_alu instid0(VALU_DEP_4) | instskip(NEXT) | instid1(VALU_DEP_3)
	v_add_co_u32 v13, vcc_lo, v43, v13
	v_mad_co_u64_u32 v[21:22], null, s5, v22, v[15:16]
	v_mad_co_u64_u32 v[22:23], null, s4, v34, 0
	v_mov_b32_e32 v15, v17
	v_lshlrev_b64_e32 v[17:18], 3, v[18:19]
	s_wait_alu 0xfffd
	v_add_co_ci_u32_e32 v14, vcc_lo, v44, v14, vcc_lo
	s_delay_alu instid0(VALU_DEP_3) | instskip(SKIP_3) | instid1(VALU_DEP_3)
	v_mad_co_u64_u32 v[24:25], null, s5, v32, v[15:16]
	v_mov_b32_e32 v15, v23
	v_mad_co_u64_u32 v[25:26], null, s4, v33, 0
	v_add_co_u32 v37, vcc_lo, v43, v17
	v_mad_co_u64_u32 v[34:35], null, s5, v34, v[15:16]
	v_mad_co_u64_u32 v[35:36], null, s4, v41, 0
	s_delay_alu instid0(VALU_DEP_4)
	v_mov_b32_e32 v15, v26
	v_mov_b32_e32 v17, v24
	s_wait_alu 0xfffd
	v_add_co_ci_u32_e32 v38, vcc_lo, v44, v18, vcc_lo
	v_lshlrev_b64_e32 v[18:19], 3, v[20:21]
	v_mad_co_u64_u32 v[20:21], null, s5, v33, v[15:16]
	v_lshlrev_b64_e32 v[16:17], 3, v[16:17]
	v_mov_b32_e32 v15, v36
	v_mov_b32_e32 v23, v34
	v_add_co_u32 v39, vcc_lo, v43, v18
	s_wait_alu 0xfffd
	v_add_co_ci_u32_e32 v40, vcc_lo, v44, v19, vcc_lo
	v_mad_co_u64_u32 v[18:19], null, s5, v41, v[15:16]
	v_mov_b32_e32 v26, v20
	v_lshlrev_b64_e32 v[21:22], 3, v[22:23]
	v_add_co_u32 v15, vcc_lo, v43, v16
	s_wait_alu 0xfffd
	v_add_co_ci_u32_e32 v16, vcc_lo, v44, v17, vcc_lo
	v_mov_b32_e32 v36, v18
	v_lshlrev_b64_e32 v[19:20], 3, v[25:26]
	v_add_co_u32 v41, vcc_lo, v43, v21
	s_wait_alu 0xfffd
	v_add_co_ci_u32_e32 v42, vcc_lo, v44, v22, vcc_lo
	v_lshlrev_b64_e32 v[17:18], 3, v[35:36]
	s_delay_alu instid0(VALU_DEP_4) | instskip(SKIP_2) | instid1(VALU_DEP_3)
	v_add_co_u32 v19, vcc_lo, v43, v19
	s_wait_alu 0xfffd
	v_add_co_ci_u32_e32 v20, vcc_lo, v44, v20, vcc_lo
	v_add_co_u32 v34, vcc_lo, v43, v17
	s_wait_alu 0xfffd
	v_add_co_ci_u32_e32 v35, vcc_lo, v44, v18, vcc_lo
	s_clause 0x7
	global_load_b64 v[25:26], v[11:12], off
	global_load_b64 v[17:18], v[13:14], off
	;; [unrolled: 1-line block ×8, first 2 shown]
.LBB0_11:
	s_or_b32 exec_lo, exec_lo, s15
	s_cbranch_execz .LBB0_13
	s_branch .LBB0_14
.LBB0_12:
                                        ; implicit-def: $vgpr3
                                        ; implicit-def: $vgpr5
                                        ; implicit-def: $vgpr17
                                        ; implicit-def: $vgpr21
                                        ; implicit-def: $vgpr15
                                        ; implicit-def: $vgpr19
                                        ; implicit-def: $vgpr11
                                        ; implicit-def: $vgpr13
                                        ; implicit-def: $vgpr23
                                        ; implicit-def: $vgpr25
                                        ; implicit-def: $vgpr7
                                        ; implicit-def: $vgpr9
                                        ; implicit-def: $vgpr29
                                        ; implicit-def: $vgpr30
                                        ; implicit-def: $vgpr31
                                        ; implicit-def: $vgpr32
                                        ; implicit-def: $vgpr33
.LBB0_13:
	s_wait_loadcnt 0xa
	v_mad_co_u64_u32 v[3:4], null, s6, v28, 0
	s_wait_loadcnt 0x8
	v_mad_co_u64_u32 v[5:6], null, s4, v27, 0
	s_wait_loadcnt 0x6
	v_add_nc_u32_e32 v17, 0x7e, v27
	s_lshl_b64 s[16:17], s[8:9], 3
	v_add_nc_u32_e32 v31, 54, v27
	s_wait_alu 0xfffe
	s_add_nc_u64 s[16:17], s[2:3], s[16:17]
	v_add_nc_u32_e32 v33, 0x5a, v27
	v_add_nc_u32_e32 v41, 0xc6, v27
	v_mad_co_u64_u32 v[7:8], null, s7, v28, v[4:5]
	s_wait_loadcnt 0x2
	v_add_nc_u32_e32 v15, 0x6c, v27
	s_wait_loadcnt 0x0
	v_mad_co_u64_u32 v[18:19], null, s4, v31, 0
	v_add_nc_u32_e32 v30, 36, v27
	v_add_nc_u32_e32 v20, 0x90, v27
	;; [unrolled: 1-line block ×3, first 2 shown]
	v_mov_b32_e32 v4, v7
	v_mad_co_u64_u32 v[12:13], null, s5, v27, v[6:7]
	v_add_nc_u32_e32 v29, 18, v27
	v_mad_co_u64_u32 v[8:9], null, s4, v15, 0
	s_delay_alu instid0(VALU_DEP_4)
	v_lshlrev_b64_e32 v[3:4], 3, v[3:4]
	v_mad_co_u64_u32 v[13:14], null, s4, v17, 0
	v_mov_b32_e32 v6, v12
	v_mad_co_u64_u32 v[10:11], null, s4, v29, 0
	v_mov_b32_e32 v7, v9
	s_wait_alu 0xfffe
	v_add_co_u32 v43, vcc_lo, s16, v3
	v_lshlrev_b64_e32 v[5:6], 3, v[5:6]
	s_wait_alu 0xfffd
	v_add_co_ci_u32_e32 v44, vcc_lo, s17, v4, vcc_lo
	v_mov_b32_e32 v9, v11
	v_mad_co_u64_u32 v[11:12], null, s5, v15, v[7:8]
	s_delay_alu instid0(VALU_DEP_4) | instskip(NEXT) | instid1(VALU_DEP_3)
	v_add_co_u32 v3, vcc_lo, v43, v5
	v_mad_co_u64_u32 v[15:16], null, s5, v29, v[9:10]
	s_wait_alu 0xfffd
	v_add_co_ci_u32_e32 v4, vcc_lo, v44, v6, vcc_lo
	s_delay_alu instid0(VALU_DEP_4) | instskip(SKIP_1) | instid1(VALU_DEP_4)
	v_mov_b32_e32 v9, v11
	v_dual_mov_b32 v5, v14 :: v_dual_add_nc_u32 v32, 0x48, v27
	v_dual_mov_b32 v11, v15 :: v_dual_add_nc_u32 v34, 0xb4, v27
	s_delay_alu instid0(VALU_DEP_3) | instskip(NEXT) | instid1(VALU_DEP_1)
	v_lshlrev_b64_e32 v[6:7], 3, v[8:9]
	v_mad_co_u64_u32 v[8:9], null, s5, v17, v[5:6]
	s_delay_alu instid0(VALU_DEP_3)
	v_lshlrev_b64_e32 v[9:10], 3, v[10:11]
	v_mad_co_u64_u32 v[11:12], null, s4, v30, 0
	v_add_co_u32 v5, vcc_lo, v43, v6
	s_wait_alu 0xfffd
	v_add_co_ci_u32_e32 v6, vcc_lo, v44, v7, vcc_lo
	v_mov_b32_e32 v14, v8
	v_add_co_u32 v7, vcc_lo, v43, v9
	v_mov_b32_e32 v9, v12
	s_wait_alu 0xfffd
	v_add_co_ci_u32_e32 v8, vcc_lo, v44, v10, vcc_lo
	v_lshlrev_b64_e32 v[12:13], 3, v[13:14]
	v_mad_co_u64_u32 v[14:15], null, s4, v20, 0
	v_mad_co_u64_u32 v[9:10], null, s5, v30, v[9:10]
	s_delay_alu instid0(VALU_DEP_3) | instskip(SKIP_1) | instid1(VALU_DEP_4)
	v_add_co_u32 v16, vcc_lo, v43, v12
	s_wait_alu 0xfffd
	v_add_co_ci_u32_e32 v17, vcc_lo, v44, v13, vcc_lo
	s_delay_alu instid0(VALU_DEP_4) | instskip(NEXT) | instid1(VALU_DEP_4)
	v_dual_mov_b32 v10, v15 :: v_dual_mov_b32 v13, v19
	v_mov_b32_e32 v12, v9
	s_delay_alu instid0(VALU_DEP_2)
	v_mad_co_u64_u32 v[20:21], null, s5, v20, v[10:11]
	s_clause 0x3
	global_load_b64 v[9:10], v[3:4], off
	global_load_b64 v[3:4], v[5:6], off
	;; [unrolled: 1-line block ×4, first 2 shown]
	v_mad_co_u64_u32 v[16:17], null, s5, v31, v[13:14]
	v_lshlrev_b64_e32 v[11:12], 3, v[11:12]
	v_mov_b32_e32 v15, v20
	v_mad_co_u64_u32 v[20:21], null, s4, v22, 0
	s_delay_alu instid0(VALU_DEP_4) | instskip(SKIP_1) | instid1(VALU_DEP_4)
	v_mov_b32_e32 v19, v16
	v_mad_co_u64_u32 v[16:17], null, s4, v32, 0
	v_lshlrev_b64_e32 v[13:14], 3, v[14:15]
	v_add_co_u32 v11, vcc_lo, v43, v11
	v_mov_b32_e32 v15, v21
	s_wait_alu 0xfffd
	v_add_co_ci_u32_e32 v12, vcc_lo, v44, v12, vcc_lo
	s_delay_alu instid0(VALU_DEP_4) | instskip(NEXT) | instid1(VALU_DEP_3)
	v_add_co_u32 v13, vcc_lo, v43, v13
	v_mad_co_u64_u32 v[21:22], null, s5, v22, v[15:16]
	v_mad_co_u64_u32 v[22:23], null, s4, v34, 0
	v_mov_b32_e32 v15, v17
	v_lshlrev_b64_e32 v[17:18], 3, v[18:19]
	s_wait_alu 0xfffd
	v_add_co_ci_u32_e32 v14, vcc_lo, v44, v14, vcc_lo
	s_delay_alu instid0(VALU_DEP_3) | instskip(SKIP_3) | instid1(VALU_DEP_3)
	v_mad_co_u64_u32 v[24:25], null, s5, v32, v[15:16]
	v_mov_b32_e32 v15, v23
	v_mad_co_u64_u32 v[25:26], null, s4, v33, 0
	v_add_co_u32 v37, vcc_lo, v43, v17
	v_mad_co_u64_u32 v[34:35], null, s5, v34, v[15:16]
	v_mad_co_u64_u32 v[35:36], null, s4, v41, 0
	s_delay_alu instid0(VALU_DEP_4)
	v_mov_b32_e32 v15, v26
	v_mov_b32_e32 v17, v24
	s_wait_alu 0xfffd
	v_add_co_ci_u32_e32 v38, vcc_lo, v44, v18, vcc_lo
	v_lshlrev_b64_e32 v[18:19], 3, v[20:21]
	v_mad_co_u64_u32 v[20:21], null, s5, v33, v[15:16]
	v_lshlrev_b64_e32 v[16:17], 3, v[16:17]
	v_mov_b32_e32 v15, v36
	v_mov_b32_e32 v23, v34
	v_add_co_u32 v39, vcc_lo, v43, v18
	s_wait_alu 0xfffd
	v_add_co_ci_u32_e32 v40, vcc_lo, v44, v19, vcc_lo
	v_mad_co_u64_u32 v[18:19], null, s5, v41, v[15:16]
	v_mov_b32_e32 v26, v20
	v_lshlrev_b64_e32 v[21:22], 3, v[22:23]
	v_add_co_u32 v15, vcc_lo, v43, v16
	s_wait_alu 0xfffd
	v_add_co_ci_u32_e32 v16, vcc_lo, v44, v17, vcc_lo
	v_mov_b32_e32 v36, v18
	v_lshlrev_b64_e32 v[19:20], 3, v[25:26]
	v_add_co_u32 v41, vcc_lo, v43, v21
	s_wait_alu 0xfffd
	v_add_co_ci_u32_e32 v42, vcc_lo, v44, v22, vcc_lo
	v_lshlrev_b64_e32 v[17:18], 3, v[35:36]
	s_delay_alu instid0(VALU_DEP_4) | instskip(SKIP_2) | instid1(VALU_DEP_3)
	v_add_co_u32 v19, vcc_lo, v43, v19
	s_wait_alu 0xfffd
	v_add_co_ci_u32_e32 v20, vcc_lo, v44, v20, vcc_lo
	v_add_co_u32 v34, vcc_lo, v43, v17
	s_wait_alu 0xfffd
	v_add_co_ci_u32_e32 v35, vcc_lo, v44, v18, vcc_lo
	s_clause 0x7
	global_load_b64 v[25:26], v[11:12], off
	global_load_b64 v[17:18], v[13:14], off
	;; [unrolled: 1-line block ×8, first 2 shown]
.LBB0_14:
	s_wait_loadcnt 0xa
	v_dual_sub_f32 v3, v9, v3 :: v_dual_sub_f32 v4, v10, v4
	s_wait_loadcnt 0x2
	v_sub_f32_e32 v15, v13, v15
	v_dual_sub_f32 v5, v7, v5 :: v_dual_sub_f32 v6, v8, v6
	s_delay_alu instid0(VALU_DEP_3)
	v_fma_f32 v34, v9, 2.0, -v3
	v_fma_f32 v35, v10, 2.0, -v4
	v_dual_sub_f32 v16, v14, v16 :: v_dual_lshlrev_b32 v9, 7, v27
	v_lshlrev_b32_e32 v10, 3, v28
	v_lshlrev_b32_e32 v36, 7, v29
	v_fma_f32 v7, v7, 2.0, -v5
	v_fma_f32 v8, v8, 2.0, -v6
	v_dual_sub_f32 v17, v25, v17 :: v_dual_sub_f32 v18, v26, v18
	v_add3_u32 v9, 0, v9, v10
	v_dual_sub_f32 v21, v23, v21 :: v_dual_sub_f32 v22, v24, v22
	s_wait_loadcnt 0x0
	v_dual_sub_f32 v19, v11, v19 :: v_dual_sub_f32 v20, v12, v20
	ds_store_2addr_b64 v9, v[34:35], v[3:4] offset1:8
	v_add3_u32 v3, 0, v36, v10
	v_lshlrev_b32_e32 v4, 7, v30
	v_lshlrev_b32_e32 v34, 7, v31
	;; [unrolled: 1-line block ×4, first 2 shown]
	ds_store_2addr_b64 v3, v[7:8], v[5:6] offset1:8
	v_add3_u32 v5, 0, v4, v10
	v_bfe_u32 v4, v0, 3, 1
	v_fma_f32 v25, v25, 2.0, -v17
	v_fma_f32 v26, v26, 2.0, -v18
	;; [unrolled: 1-line block ×4, first 2 shown]
	v_lshlrev_b32_e32 v7, 3, v4
	v_add3_u32 v6, 0, v34, v10
	v_fma_f32 v13, v13, 2.0, -v15
	v_fma_f32 v14, v14, 2.0, -v16
	v_add3_u32 v34, 0, v35, v10
	v_fma_f32 v11, v11, 2.0, -v19
	v_fma_f32 v12, v12, 2.0, -v20
	v_add3_u32 v35, 0, v36, v10
	ds_store_2addr_b64 v5, v[25:26], v[17:18] offset1:8
	ds_store_2addr_b64 v6, v[23:24], v[21:22] offset1:8
	;; [unrolled: 1-line block ×4, first 2 shown]
	global_wb scope:SCOPE_SE
	s_wait_dscnt 0x0
	s_barrier_signal -1
	s_barrier_wait -1
	global_inv scope:SCOPE_SE
	global_load_b64 v[7:8], v7, s[10:11]
	v_lshlrev_b32_e32 v11, 6, v27
	v_lshlrev_b32_e32 v17, 1, v27
	;; [unrolled: 1-line block ×9, first 2 shown]
	v_and_or_b32 v17, v17, 60, v4
	v_and_or_b32 v18, 0x1fc, v18, v4
	;; [unrolled: 1-line block ×6, first 2 shown]
	v_sub_nc_u32_e32 v4, v9, v11
	v_lshlrev_b32_e32 v13, 6, v30
	v_lshlrev_b32_e32 v14, 6, v31
	;; [unrolled: 1-line block ×3, first 2 shown]
	v_sub_nc_u32_e32 v3, v3, v12
	v_sub_nc_u32_e32 v9, v35, v16
	v_add_nc_u32_e32 v12, 0x1800, v4
	v_add_nc_u32_e32 v16, 0x2400, v4
	v_sub_nc_u32_e32 v5, v5, v13
	v_sub_nc_u32_e32 v11, v6, v14
	;; [unrolled: 1-line block ×3, first 2 shown]
	v_lshlrev_b32_e32 v48, 6, v20
	v_add_nc_u32_e32 v20, 0x2c00, v4
	v_lshlrev_b32_e32 v45, 6, v17
	v_lshlrev_b32_e32 v46, 6, v18
	;; [unrolled: 1-line block ×5, first 2 shown]
	ds_load_2addr_b64 v[12:15], v12 offset0:96 offset1:240
	ds_load_2addr_b64 v[16:19], v16 offset1:144
	ds_load_b64 v[24:25], v4
	ds_load_b64 v[32:33], v3
	;; [unrolled: 1-line block ×4, first 2 shown]
	ds_load_2addr_b64 v[20:23], v20 offset0:32 offset1:176
	ds_load_b64 v[38:39], v11
	ds_load_b64 v[40:41], v9
	v_add3_u32 v9, 0, v45, v10
	v_add3_u32 v45, 0, v46, v10
	;; [unrolled: 1-line block ×3, first 2 shown]
	v_bfe_u32 v26, v0, 3, 2
	global_wb scope:SCOPE_SE
	s_wait_loadcnt_dscnt 0x0
	s_barrier_signal -1
	s_barrier_wait -1
	global_inv scope:SCOPE_SE
	v_cmp_gt_u64_e32 vcc_lo, s[12:13], v[1:2]
	s_or_b32 s12, s14, vcc_lo
	v_mul_f32_e32 v55, v8, v16
	v_mul_f32_e32 v59, v8, v20
	;; [unrolled: 1-line block ×3, first 2 shown]
	v_dual_mul_f32 v23, v7, v23 :: v_dual_and_b32 v42, 3, v29
	v_mul_f32_e32 v53, v8, v14
	v_mul_f32_e32 v57, v8, v18
	v_fmac_f32_e32 v55, v7, v17
	s_delay_alu instid0(VALU_DEP_4)
	v_fmac_f32_e32 v23, v8, v22
	v_dual_fmac_f32 v59, v7, v21 :: v_dual_lshlrev_b32 v44, 4, v42
	v_mul_f32_e32 v51, v8, v12
	v_mul_f32_e32 v52, v8, v15
	v_mul_f32_e32 v56, v8, v19
	v_fmac_f32_e32 v53, v7, v15
	v_fmac_f32_e32 v57, v7, v19
	v_sub_f32_e32 v15, v35, v55
	v_add3_u32 v47, 0, v48, v10
	v_add3_u32 v48, 0, v49, v10
	v_sub_f32_e32 v19, v37, v59
	v_add3_u32 v49, 0, v50, v10
	v_mul_f32_e32 v50, v8, v13
	v_mul_f32_e32 v54, v8, v17
	;; [unrolled: 1-line block ×3, first 2 shown]
	v_fmac_f32_e32 v51, v7, v13
	v_fma_f32 v13, v7, v14, -v52
	v_fma_f32 v12, v7, v12, -v50
	;; [unrolled: 1-line block ×6, first 2 shown]
	v_dual_sub_f32 v7, v24, v12 :: v_dual_sub_f32 v8, v25, v51
	v_sub_f32_e32 v12, v32, v13
	v_dual_sub_f32 v13, v33, v53 :: v_dual_sub_f32 v14, v34, v14
	v_dual_sub_f32 v16, v38, v16 :: v_dual_lshlrev_b32 v43, 4, v26
	v_dual_sub_f32 v17, v39, v57 :: v_dual_sub_f32 v18, v36, v18
	v_dual_sub_f32 v20, v40, v20 :: v_dual_sub_f32 v21, v41, v23
	v_fma_f32 v22, v24, 2.0, -v7
	v_fma_f32 v23, v25, 2.0, -v8
	;; [unrolled: 1-line block ×12, first 2 shown]
	ds_store_2addr_b64 v9, v[22:23], v[7:8] offset1:16
	ds_store_2addr_b64 v45, v[24:25], v[12:13] offset1:16
	;; [unrolled: 1-line block ×6, first 2 shown]
	global_wb scope:SCOPE_SE
	s_wait_dscnt 0x0
	s_barrier_signal -1
	s_barrier_wait -1
	global_inv scope:SCOPE_SE
	s_clause 0x1
	global_load_b128 v[12:15], v43, s[10:11] offset:16
	global_load_b128 v[16:19], v44, s[10:11] offset:16
	v_and_b32_e32 v7, 3, v31
	v_mul_lo_u16 v32, v27, 22
	v_lshrrev_b32_e32 v9, 2, v29
	v_lshrrev_b32_e32 v24, 2, v30
	v_lshrrev_b32_e32 v25, 2, v31
	v_lshlrev_b32_e32 v8, 4, v7
	v_lshrrev_b16 v52, 8, v32
	v_mul_lo_u32 v9, v9, 12
	v_mul_lo_u32 v24, v24, 12
	;; [unrolled: 1-line block ×3, first 2 shown]
	global_load_b128 v[20:23], v8, s[10:11] offset:16
	v_lshrrev_b32_e32 v8, 5, v0
	v_and_b32_e32 v0, 0xff, v29
	v_and_b32_e32 v34, 0xff, v31
	;; [unrolled: 1-line block ×3, first 2 shown]
	v_mul_lo_u16 v36, v52, 12
	v_mul_u32_u24_e32 v8, 12, v8
	v_mul_lo_u16 v32, 0xab, v0
	v_mul_lo_u16 v34, 0xab, v34
	;; [unrolled: 1-line block ×3, first 2 shown]
	v_or_b32_e32 v24, v24, v26
	v_or_b32_e32 v35, v8, v26
	v_lshrrev_b16 v53, 11, v32
	v_lshrrev_b16 v55, 11, v34
	;; [unrolled: 1-line block ×3, first 2 shown]
	v_or_b32_e32 v32, v9, v42
	v_add_nc_u32_e32 v9, 0x2800, v4
	v_mul_lo_u16 v34, v53, 12
	v_add_nc_u32_e32 v8, 0x1400, v4
	v_sub_nc_u16 v33, v27, v36
	v_mul_lo_u16 v36, v55, 12
	v_lshlrev_b32_e32 v37, 6, v24
	v_sub_nc_u16 v38, v29, v34
	v_or_b32_e32 v25, v25, v7
	s_delay_alu instid0(VALU_DEP_4) | instskip(NEXT) | instid1(VALU_DEP_4)
	v_sub_nc_u16 v57, v31, v36
	v_add3_u32 v59, 0, v37, v10
	s_delay_alu instid0(VALU_DEP_4)
	v_and_b32_e32 v60, 0xff, v38
	ds_load_2addr_b64 v[38:41], v9 offset0:16 offset1:160
	v_lshlrev_b32_e32 v26, 6, v35
	v_mul_lo_u16 v35, v54, 12
	v_add_nc_u32_e32 v7, 0x1e00, v4
	v_and_b32_e32 v56, 0xff, v33
	s_delay_alu instid0(VALU_DEP_3)
	v_sub_nc_u16 v43, v30, v35
	ds_load_2addr_b64 v[34:37], v8 offset0:80 offset1:224
	v_lshlrev_b32_e32 v42, 6, v25
	ds_load_b64 v[24:25], v6
	s_wait_loadcnt_dscnt 0x201
	v_dual_mul_f32 v71, v13, v37 :: v_dual_lshlrev_b32 v32, 6, v32
	s_delay_alu instid0(VALU_DEP_1)
	v_add3_u32 v58, 0, v32, v10
	s_wait_loadcnt 0x1
	v_mul_f32_e32 v70, v19, v39
	ds_load_2addr_b64 v[30:33], v7 offset0:48 offset1:192
	s_wait_dscnt 0x1
	v_mul_f32_e32 v65, v13, v25
	v_dual_mul_f32 v66, v13, v24 :: v_dual_and_b32 v63, 0xff, v43
	v_mul_f32_e32 v13, v13, v36
	v_add3_u32 v61, 0, v42, v10
	ds_load_b64 v[42:43], v4
	ds_load_b64 v[44:45], v5
	;; [unrolled: 1-line block ×3, first 2 shown]
	ds_load_b64 v[48:49], v4 offset:12672
	ds_load_b64 v[50:51], v11
	v_dual_fmac_f32 v66, v12, v25 :: v_dual_mul_f32 v69, v17, v35
	v_mul_f32_e32 v17, v17, v34
	v_mul_f32_e32 v19, v19, v38
	;; [unrolled: 1-line block ×4, first 2 shown]
	v_lshlrev_b32_e32 v62, 4, v56
	v_fma_f32 v24, v12, v24, -v65
	v_fmac_f32_e32 v17, v16, v35
	v_fmac_f32_e32 v19, v18, v39
	;; [unrolled: 1-line block ×3, first 2 shown]
	v_add3_u32 v26, 0, v26, v10
	global_wb scope:SCOPE_SE
	s_wait_loadcnt_dscnt 0x0
	v_mul_f32_e32 v67, v15, v33
	v_mul_f32_e32 v68, v15, v32
	;; [unrolled: 1-line block ×3, first 2 shown]
	v_dual_mul_f32 v21, v30, v21 :: v_dual_lshlrev_b32 v64, 4, v60
	v_mul_f32_e32 v74, v49, v23
	v_mul_f32_e32 v23, v48, v23
	v_fma_f32 v25, v14, v32, -v67
	v_fmac_f32_e32 v68, v14, v33
	v_fma_f32 v32, v16, v34, -v69
	v_fma_f32 v16, v18, v38, -v70
	;; [unrolled: 1-line block ×5, first 2 shown]
	v_fmac_f32_e32 v21, v31, v20
	v_fma_f32 v20, v48, v22, -v74
	v_dual_add_f32 v30, v43, v66 :: v_dual_fmac_f32 v73, v14, v41
	v_sub_f32_e32 v36, v17, v19
	v_dual_fmac_f32 v23, v49, v22 :: v_dual_sub_f32 v22, v66, v68
	v_dual_add_f32 v15, v24, v25 :: v_dual_add_f32 v34, v46, v32
	v_dual_add_f32 v31, v66, v68 :: v_dual_add_f32 v38, v44, v18
	v_add_f32_e32 v14, v42, v24
	v_sub_f32_e32 v24, v24, v25
	v_dual_add_f32 v35, v32, v16 :: v_dual_sub_f32 v40, v13, v73
	v_dual_add_f32 v37, v47, v17 :: v_dual_sub_f32 v32, v32, v16
	v_add_f32_e32 v17, v17, v19
	v_dual_add_f32 v39, v18, v33 :: v_dual_sub_f32 v66, v21, v23
	v_dual_add_f32 v48, v13, v73 :: v_dual_add_f32 v65, v12, v20
	v_fma_f32 v42, -0.5, v15, v42
	v_sub_f32_e32 v49, v18, v33
	v_dual_add_f32 v18, v50, v12 :: v_dual_add_f32 v67, v51, v21
	v_add_f32_e32 v21, v21, v23
	v_fmac_f32_e32 v43, -0.5, v31
	v_fma_f32 v46, -0.5, v35, v46
	v_fma_f32 v44, -0.5, v39, v44
	v_fmac_f32_e32 v47, -0.5, v17
	v_add_f32_e32 v41, v45, v13
	v_fma_f32 v50, -0.5, v65, v50
	v_fmac_f32_e32 v45, -0.5, v48
	v_dual_sub_f32 v69, v12, v20 :: v_dual_add_f32 v12, v14, v25
	v_add_f32_e32 v13, v30, v68
	v_dual_add_f32 v18, v18, v20 :: v_dual_fmac_f32 v51, -0.5, v21
	v_fmamk_f32 v20, v22, 0x3f5db3d7, v42
	v_dual_fmamk_f32 v21, v24, 0xbf5db3d7, v43 :: v_dual_fmac_f32 v42, 0xbf5db3d7, v22
	v_fmac_f32_e32 v43, 0x3f5db3d7, v24
	v_dual_add_f32 v14, v34, v16 :: v_dual_add_f32 v15, v37, v19
	v_dual_add_f32 v19, v67, v23 :: v_dual_fmamk_f32 v22, v36, 0x3f5db3d7, v46
	v_fmamk_f32 v24, v40, 0x3f5db3d7, v44
	v_dual_fmamk_f32 v23, v32, 0xbf5db3d7, v47 :: v_dual_fmac_f32 v46, 0xbf5db3d7, v36
	v_dual_fmac_f32 v47, 0x3f5db3d7, v32 :: v_dual_add_f32 v16, v38, v33
	v_dual_add_f32 v17, v41, v73 :: v_dual_fmac_f32 v44, 0xbf5db3d7, v40
	v_fmamk_f32 v30, v66, 0x3f5db3d7, v50
	v_fmamk_f32 v25, v49, 0xbf5db3d7, v45
	s_barrier_signal -1
	s_barrier_wait -1
	global_inv scope:SCOPE_SE
	v_fmac_f32_e32 v45, 0x3f5db3d7, v49
	v_dual_fmac_f32 v50, 0xbf5db3d7, v66 :: v_dual_fmamk_f32 v31, v69, 0xbf5db3d7, v51
	v_fmac_f32_e32 v51, 0x3f5db3d7, v69
	ds_store_2addr_b64 v26, v[12:13], v[20:21] offset1:32
	ds_store_b64 v26, v[42:43] offset:512
	ds_store_2addr_b64 v58, v[14:15], v[22:23] offset1:32
	ds_store_b64 v58, v[46:47] offset:512
	;; [unrolled: 2-line block ×4, first 2 shown]
	global_wb scope:SCOPE_SE
	s_wait_dscnt 0x0
	s_barrier_signal -1
	s_barrier_wait -1
	global_inv scope:SCOPE_SE
	s_clause 0x1
	global_load_b128 v[12:15], v62, s[10:11] offset:80
	global_load_b128 v[16:19], v64, s[10:11] offset:80
	v_and_b32_e32 v26, 0xff, v57
	v_lshlrev_b32_e32 v20, 4, v63
	v_and_b32_e32 v34, 0xffff, v55
	s_delay_alu instid0(VALU_DEP_3)
	v_lshlrev_b32_e32 v24, 4, v26
	s_clause 0x1
	global_load_b128 v[20:23], v20, s[10:11] offset:80
	global_load_b128 v[30:33], v24, s[10:11] offset:80
	v_and_b32_e32 v24, 0xffff, v53
	v_mul_u32_u24_e32 v42, 36, v34
	s_delay_alu instid0(VALU_DEP_2) | instskip(NEXT) | instid1(VALU_DEP_1)
	v_mul_u32_u24_e32 v35, 36, v24
	v_add_lshl_u32 v46, v35, v60, 6
	ds_load_2addr_b64 v[34:37], v7 offset0:48 offset1:192
	s_wait_loadcnt_dscnt 0x300
	v_dual_mul_f32 v57, v15, v37 :: v_dual_and_b32 v2, 0xffff, v52
	v_mul_f32_e32 v15, v15, v36
	s_delay_alu instid0(VALU_DEP_2) | instskip(NEXT) | instid1(VALU_DEP_2)
	v_mul_u32_u24_e32 v2, 36, v2
	v_fmac_f32_e32 v15, v14, v37
	v_and_b32_e32 v25, 0xffff, v54
	s_delay_alu instid0(VALU_DEP_3)
	v_add_lshl_u32 v2, v2, v56, 6
	v_add3_u32 v54, 0, v46, v10
	s_wait_loadcnt 0x0
	v_mul_f32_e32 v62, v35, v31
	v_mul_u32_u24_e32 v38, 36, v25
	ds_load_b64 v[24:25], v6
	v_add3_u32 v2, 0, v2, v10
	v_add_lshl_u32 v47, v38, v63, 6
	ds_load_2addr_b64 v[38:41], v8 offset0:80 offset1:224
	v_add3_u32 v55, 0, v47, v10
	s_wait_dscnt 0x1
	v_mul_f32_e32 v56, v13, v25
	v_mul_f32_e32 v13, v13, v24
	v_add_lshl_u32 v26, v42, v26, 6
	ds_load_2addr_b64 v[42:45], v9 offset0:16 offset1:160
	s_wait_dscnt 0x1
	v_mul_f32_e32 v58, v17, v39
	v_mul_f32_e32 v17, v17, v38
	v_add3_u32 v26, 0, v26, v10
	ds_load_b64 v[46:47], v4
	ds_load_b64 v[48:49], v5
	;; [unrolled: 1-line block ×3, first 2 shown]
	ds_load_b64 v[52:53], v4 offset:12672
	ds_load_b64 v[10:11], v11
	v_fma_f32 v24, v12, v24, -v56
	v_fmac_f32_e32 v13, v12, v25
	v_fma_f32 v12, v14, v36, -v57
	v_fma_f32 v14, v16, v38, -v58
	v_dual_fmac_f32 v17, v16, v39 :: v_dual_mul_f32 v60, v21, v41
	v_mul_f32_e32 v21, v21, v40
	global_wb scope:SCOPE_SE
	s_wait_dscnt 0x0
	s_barrier_signal -1
	s_barrier_wait -1
	global_inv scope:SCOPE_SE
	v_mul_f32_e32 v59, v19, v43
	v_add_f32_e32 v37, v50, v14
	v_mul_f32_e32 v63, v53, v33
	s_delay_alu instid0(VALU_DEP_3) | instskip(SKIP_2) | instid1(VALU_DEP_4)
	v_fma_f32 v16, v18, v42, -v59
	v_mul_f32_e32 v19, v19, v42
	v_mul_f32_e32 v31, v34, v31
	v_fma_f32 v25, v52, v32, -v63
	s_delay_alu instid0(VALU_DEP_4) | instskip(NEXT) | instid1(VALU_DEP_1)
	v_add_f32_e32 v38, v14, v16
	v_fma_f32 v50, -0.5, v38, v50
	v_fmac_f32_e32 v19, v18, v43
	v_fma_f32 v18, v20, v40, -v60
	v_dual_mul_f32 v61, v45, v23 :: v_dual_add_f32 v40, v51, v17
	s_delay_alu instid0(VALU_DEP_2) | instskip(SKIP_1) | instid1(VALU_DEP_3)
	v_add_f32_e32 v42, v48, v18
	v_fmac_f32_e32 v21, v20, v41
	v_fma_f32 v20, v44, v22, -v61
	v_mul_f32_e32 v23, v44, v23
	v_sub_f32_e32 v41, v14, v16
	v_add_f32_e32 v14, v37, v16
	s_delay_alu instid0(VALU_DEP_4) | instskip(NEXT) | instid1(VALU_DEP_4)
	v_dual_add_f32 v16, v42, v20 :: v_dual_mul_f32 v33, v52, v33
	v_dual_sub_f32 v52, v18, v20 :: v_dual_fmac_f32 v23, v45, v22
	v_fma_f32 v22, v34, v30, -v62
	v_add_f32_e32 v43, v18, v20
	s_delay_alu instid0(VALU_DEP_2) | instskip(NEXT) | instid1(VALU_DEP_4)
	v_sub_f32_e32 v58, v22, v25
	v_sub_f32_e32 v44, v21, v23
	v_fmac_f32_e32 v33, v53, v32
	v_add_f32_e32 v32, v24, v12
	v_add_f32_e32 v18, v10, v22
	v_dual_fmac_f32 v31, v35, v30 :: v_dual_add_f32 v30, v46, v24
	v_sub_f32_e32 v24, v24, v12
	s_delay_alu instid0(VALU_DEP_4) | instskip(NEXT) | instid1(VALU_DEP_4)
	v_fma_f32 v46, -0.5, v32, v46
	v_add_f32_e32 v18, v18, v25
	v_add_f32_e32 v53, v22, v25
	;; [unrolled: 1-line block ×3, first 2 shown]
	v_sub_f32_e32 v34, v13, v15
	v_fma_f32 v48, -0.5, v43, v48
	v_add_f32_e32 v57, v11, v31
	v_fma_f32 v10, -0.5, v53, v10
	s_delay_alu instid0(VALU_DEP_4)
	v_fmamk_f32 v20, v34, 0x3f5db3d7, v46
	v_fmac_f32_e32 v46, 0xbf5db3d7, v34
	v_add_f32_e32 v36, v13, v15
	v_dual_sub_f32 v56, v31, v33 :: v_dual_sub_f32 v39, v17, v19
	v_add_f32_e32 v35, v47, v13
	v_add_f32_e32 v45, v49, v21
	;; [unrolled: 1-line block ×3, first 2 shown]
	v_fmac_f32_e32 v47, -0.5, v36
	v_dual_add_f32 v31, v31, v33 :: v_dual_fmamk_f32 v30, v56, 0x3f5db3d7, v10
	s_delay_alu instid0(VALU_DEP_3) | instskip(NEXT) | instid1(VALU_DEP_3)
	v_dual_fmac_f32 v10, 0xbf5db3d7, v56 :: v_dual_fmac_f32 v49, -0.5, v21
	v_fmamk_f32 v21, v24, 0xbf5db3d7, v47
	v_dual_fmac_f32 v47, 0x3f5db3d7, v24 :: v_dual_fmamk_f32 v24, v44, 0x3f5db3d7, v48
	v_fmac_f32_e32 v48, 0xbf5db3d7, v44
	v_dual_fmamk_f32 v22, v39, 0x3f5db3d7, v50 :: v_dual_add_f32 v17, v17, v19
	v_fmac_f32_e32 v11, -0.5, v31
	v_fmac_f32_e32 v50, 0xbf5db3d7, v39
	v_add_f32_e32 v13, v35, v15
	v_add_f32_e32 v15, v40, v19
	v_fmac_f32_e32 v51, -0.5, v17
	v_add_f32_e32 v17, v45, v23
	v_fmamk_f32 v25, v52, 0xbf5db3d7, v49
	v_add_f32_e32 v19, v57, v33
	v_fmac_f32_e32 v49, 0x3f5db3d7, v52
	v_fmamk_f32 v23, v41, 0xbf5db3d7, v51
	v_fmac_f32_e32 v51, 0x3f5db3d7, v41
	v_fmamk_f32 v31, v58, 0xbf5db3d7, v11
	v_fmac_f32_e32 v11, 0x3f5db3d7, v58
	ds_store_2addr_b64 v2, v[12:13], v[20:21] offset1:96
	ds_store_b64 v2, v[46:47] offset:1536
	ds_store_2addr_b64 v54, v[14:15], v[22:23] offset1:96
	ds_store_b64 v54, v[50:51] offset:1536
	ds_store_2addr_b64 v55, v[16:17], v[24:25] offset1:96
	ds_store_b64 v55, v[48:49] offset:1536
	ds_store_2addr_b64 v26, v[18:19], v[30:31] offset1:96
	ds_store_b64 v26, v[10:11] offset:1536
	global_wb scope:SCOPE_SE
	s_wait_dscnt 0x0
	s_barrier_signal -1
	s_barrier_wait -1
	global_inv scope:SCOPE_SE
	s_wait_alu 0xfffe
	s_and_saveexec_b32 s13, s12
	s_cbranch_execz .LBB0_16
; %bb.15:
	v_mul_lo_u16 v0, v0, 57
	v_mul_u32_u24_e32 v2, 5, v27
	s_load_b64 s[0:1], s[0:1], 0x8
	s_delay_alu instid0(VALU_DEP_2) | instskip(NEXT) | instid1(VALU_DEP_2)
	v_lshrrev_b16 v0, 11, v0
	v_lshlrev_b32_e32 v2, 3, v2
	s_delay_alu instid0(VALU_DEP_2)
	v_mul_lo_u16 v10, v0, 36
	s_clause 0x1
	global_load_b128 v[13:16], v2, s[10:11] offset:272
	global_load_b64 v[25:26], v2, s[10:11] offset:304
	v_add_nc_u32_e32 v11, 0x6c, v27
	v_and_b32_e32 v0, 0xffff, v0
	v_sub_nc_u16 v10, v29, v10
	s_delay_alu instid0(VALU_DEP_3) | instskip(NEXT) | instid1(VALU_DEP_2)
	v_mul_lo_u32 v37, v1, v11
	v_and_b32_e32 v84, 0xff, v10
	s_delay_alu instid0(VALU_DEP_1) | instskip(NEXT) | instid1(VALU_DEP_3)
	v_mul_u32_u24_e32 v10, 5, v84
	v_lshrrev_b32_e32 v39, 5, v37
	v_mul_lo_u32 v86, v1, v84
	s_delay_alu instid0(VALU_DEP_3)
	v_lshlrev_b32_e32 v34, 3, v10
	s_clause 0x2
	global_load_b128 v[17:20], v34, s[10:11] offset:288
	global_load_b128 v[21:24], v2, s[10:11] offset:288
	;; [unrolled: 1-line block ×3, first 2 shown]
	v_add_nc_u32_e32 v2, 0xb4, v27
	v_add_nc_u32_e32 v10, 0x90, v27
	v_and_b32_e32 v38, 0xff, v37
	v_add_nc_u32_e32 v40, 0xb4, v84
	s_delay_alu instid0(VALU_DEP_4) | instskip(NEXT) | instid1(VALU_DEP_4)
	v_mul_lo_u32 v35, v1, v2
	v_mul_lo_u32 v85, v1, v10
	s_delay_alu instid0(VALU_DEP_3) | instskip(SKIP_1) | instid1(VALU_DEP_4)
	v_mul_lo_u32 v87, v1, v40
	v_lshrrev_b32_e32 v40, 5, v86
	v_and_b32_e32 v12, 0xff, v35
	v_lshrrev_b32_e32 v36, 5, v35
	s_delay_alu instid0(VALU_DEP_2) | instskip(NEXT) | instid1(VALU_DEP_2)
	v_lshlrev_b32_e32 v12, 3, v12
	v_and_b32_e32 v36, 0x7f8, v36
	s_wait_kmcnt 0x0
	s_clause 0x1
	global_load_b64 v[42:43], v12, s[0:1]
	global_load_b64 v[44:45], v36, s[0:1] offset:2048
	v_and_b32_e32 v12, 0xff, v85
	v_lshrrev_b32_e32 v36, 5, v85
	s_delay_alu instid0(VALU_DEP_2) | instskip(NEXT) | instid1(VALU_DEP_2)
	v_lshlrev_b32_e32 v12, 3, v12
	v_and_b32_e32 v36, 0x7f8, v36
	s_clause 0x1
	global_load_b64 v[46:47], v12, s[0:1]
	global_load_b64 v[48:49], v36, s[0:1] offset:2048
	v_lshlrev_b32_e32 v12, 3, v38
	v_and_b32_e32 v36, 0x7f8, v39
	s_clause 0x1
	global_load_b64 v[50:51], v12, s[0:1]
	global_load_b64 v[52:53], v36, s[0:1] offset:2048
	v_add_nc_u32_e32 v12, 0x48, v27
	s_delay_alu instid0(VALU_DEP_1) | instskip(NEXT) | instid1(VALU_DEP_1)
	v_mul_lo_u32 v36, v1, v12
	v_and_b32_e32 v38, 0xff, v36
	v_lshrrev_b32_e32 v39, 5, v36
	s_delay_alu instid0(VALU_DEP_2) | instskip(NEXT) | instid1(VALU_DEP_2)
	v_lshlrev_b32_e32 v38, 3, v38
	v_and_b32_e32 v39, 0x7f8, v39
	s_clause 0x1
	global_load_b64 v[54:55], v38, s[0:1]
	global_load_b64 v[56:57], v39, s[0:1] offset:2048
	v_and_b32_e32 v39, 0xff, v86
	v_add_nc_u32_e32 v38, 0x90, v84
	global_load_b64 v[58:59], v34, s[10:11] offset:304
	v_lshlrev_b32_e32 v34, 3, v39
	v_and_b32_e32 v39, 0xff, v87
	v_mul_lo_u32 v88, v1, v38
	v_and_b32_e32 v38, 0x7f8, v40
	v_lshrrev_b32_e32 v40, 5, v87
	s_clause 0x1
	global_load_b64 v[60:61], v34, s[0:1]
	global_load_b64 v[62:63], v38, s[0:1] offset:2048
	v_lshlrev_b32_e32 v34, 3, v39
	v_and_b32_e32 v38, 0x7f8, v40
	s_clause 0x1
	global_load_b64 v[64:65], v34, s[0:1]
	global_load_b64 v[66:67], v38, s[0:1] offset:2048
	v_and_b32_e32 v39, 0xff, v88
	v_lshrrev_b32_e32 v40, 5, v88
	s_delay_alu instid0(VALU_DEP_2) | instskip(NEXT) | instid1(VALU_DEP_2)
	v_lshlrev_b32_e32 v34, 3, v39
	v_and_b32_e32 v38, 0x7f8, v40
	s_clause 0x1
	global_load_b64 v[68:69], v34, s[0:1]
	global_load_b64 v[70:71], v38, s[0:1] offset:2048
	ds_load_b64 v[72:73], v6
	ds_load_b64 v[74:75], v5
	v_lshrrev_b32_e32 v5, 13, v35
	v_lshrrev_b32_e32 v6, 13, v37
	v_lshrrev_b32_e32 v34, 13, v36
	s_delay_alu instid0(VALU_DEP_3) | instskip(NEXT) | instid1(VALU_DEP_3)
	v_and_b32_e32 v5, 0x7f8, v5
	v_and_b32_e32 v6, 0x7f8, v6
	s_delay_alu instid0(VALU_DEP_3)
	v_and_b32_e32 v38, 0x7f8, v34
	ds_load_2addr_b64 v[34:37], v9 offset0:16 offset1:160
	s_clause 0x2
	global_load_b64 v[76:77], v5, s[0:1] offset:4096
	global_load_b64 v[78:79], v6, s[0:1] offset:4096
	;; [unrolled: 1-line block ×3, first 2 shown]
	ds_load_2addr_b64 v[38:41], v8 offset0:80 offset1:224
	ds_load_b64 v[82:83], v4 offset:3456
	s_wait_loadcnt_dscnt 0x1604
	v_mul_f32_e32 v5, v16, v73
	v_mul_f32_e32 v9, v16, v72
	v_lshrrev_b32_e32 v16, 13, v85
	s_wait_dscnt 0x3
	v_mul_f32_e32 v85, v14, v75
	v_mul_f32_e32 v89, v14, v74
	v_fma_f32 v72, v15, v72, -v5
	ds_load_2addr_b64 v[5:8], v7 offset0:48 offset1:192
	v_fmac_f32_e32 v9, v15, v73
	v_fma_f32 v73, v13, v74, -v85
	s_wait_loadcnt_dscnt 0x1503
	v_mul_f32_e32 v74, v26, v37
	v_mul_f32_e32 v85, v26, v36
	v_and_b32_e32 v14, 0x7f8, v16
	v_add_nc_u32_e32 v15, 0x6c, v84
	v_add_nc_u32_e32 v16, 0x48, v84
	v_fma_f32 v74, v25, v36, -v74
	v_fmac_f32_e32 v85, v25, v37
	v_fmac_f32_e32 v89, v13, v75
	v_mul_lo_u32 v75, v1, v15
	v_mul_lo_u32 v90, v1, v16
	s_wait_loadcnt 0x14
	v_mul_f32_e32 v15, v35, v20
	s_wait_loadcnt_dscnt 0x1302
	v_mul_f32_e32 v97, v22, v40
	v_mul_f32_e32 v91, v34, v20
	v_lshrrev_b32_e32 v20, 5, v75
	s_wait_dscnt 0x0
	v_mul_f32_e32 v25, v6, v18
	v_mul_f32_e32 v93, v5, v18
	;; [unrolled: 1-line block ×3, first 2 shown]
	v_fma_f32 v92, v34, v19, -v15
	v_and_b32_e32 v15, 0xff, v90
	v_fma_f32 v94, v5, v17, -v25
	v_fmac_f32_e32 v93, v6, v17
	v_mul_f32_e32 v17, v24, v8
	v_fmac_f32_e32 v95, v23, v8
	v_fmac_f32_e32 v97, v21, v41
	v_fmac_f32_e32 v91, v35, v19
	v_lshrrev_b32_e32 v19, 5, v90
	v_fma_f32 v96, v23, v7, -v17
	v_dual_mul_f32 v23, v22, v41 :: v_dual_add_nc_u32 v22, 36, v84
	v_and_b32_e32 v18, 0x7f8, v20
	v_lshlrev_b32_e32 v20, 3, v15
	v_and_b32_e32 v19, 0x7f8, v19
	s_delay_alu instid0(VALU_DEP_4)
	v_fma_f32 v84, v21, v40, -v23
	s_wait_loadcnt 0x12
	v_mul_f32_e32 v21, v39, v33
	v_mul_lo_u32 v34, v1, v22
	v_mul_f32_e32 v100, v82, v31
	v_mul_f32_e32 v98, v38, v33
	v_lshrrev_b32_e32 v35, 13, v88
	v_fma_f32 v99, v38, v32, -v21
	v_lshrrev_b32_e32 v36, 13, v75
	v_fmac_f32_e32 v100, v83, v30
	v_fmac_f32_e32 v98, v39, v32
	v_lshrrev_b32_e32 v32, 13, v87
	v_lshrrev_b32_e32 v38, 13, v34
	v_lshrrev_b32_e32 v37, 13, v90
	v_and_b32_e32 v36, 0x7f8, v36
	s_wait_loadcnt 0xe
	v_dual_mul_f32 v39, v47, v49 :: v_dual_and_b32 v32, 0x7f8, v32
	s_delay_alu instid0(VALU_DEP_3)
	v_and_b32_e32 v40, 0x7f8, v37
	s_wait_loadcnt 0xc
	v_mul_f32_e32 v41, v51, v53
	v_dual_mul_f32 v53, v50, v53 :: v_dual_and_b32 v16, 0xff, v75
	global_load_b64 v[13:14], v14, s[0:1] offset:4096
	v_mul_f32_e32 v75, v46, v49
	v_fma_f32 v50, v50, v52, -v41
	v_fmac_f32_e32 v53, v51, v52
	v_lshlrev_b32_e32 v16, 3, v16
	s_clause 0x1
	global_load_b64 v[5:6], v16, s[0:1]
	global_load_b64 v[15:16], v18, s[0:1] offset:2048
	s_wait_loadcnt 0xd
	v_dual_fmac_f32 v75, v47, v48 :: v_dual_mul_f32 v52, v54, v57
	s_clause 0x1
	global_load_b64 v[7:8], v20, s[0:1]
	global_load_b64 v[17:18], v19, s[0:1] offset:2048
	ds_load_b64 v[19:20], v4 offset:12672
	ds_load_b64 v[21:22], v4
	v_dual_mul_f32 v4, v83, v31 :: v_dual_and_b32 v23, 0xff, v34
	v_dual_fmac_f32 v52, v55, v56 :: v_dual_mul_f32 v83, v42, v45
	v_add_nc_u32_e32 v51, 36, v27
	s_delay_alu instid0(VALU_DEP_3) | instskip(SKIP_3) | instid1(VALU_DEP_3)
	v_fma_f32 v82, v82, v30, -v4
	v_lshrrev_b32_e32 v4, 5, v34
	v_lshlrev_b32_e32 v23, 3, v23
	v_dual_fmac_f32 v83, v43, v44 :: v_dual_and_b32 v34, 0x7f8, v35
	v_and_b32_e32 v4, 0x7f8, v4
	s_clause 0x1
	global_load_b64 v[23:24], v23, s[0:1]
	global_load_b64 v[25:26], v4, s[0:1] offset:2048
	v_lshrrev_b32_e32 v4, 13, v86
	s_clause 0x1
	global_load_b64 v[32:33], v32, s[0:1] offset:4096
	global_load_b64 v[34:35], v34, s[0:1] offset:4096
	v_fma_f32 v86, v46, v48, -v39
	v_mul_lo_u32 v46, v1, v27
	v_and_b32_e32 v4, 0x7f8, v4
	global_load_b64 v[30:31], v4, s[0:1] offset:4096
	v_dual_mul_f32 v4, v43, v45 :: v_dual_and_b32 v47, 0xff, v46
	v_lshrrev_b32_e32 v48, 5, v46
	s_delay_alu instid0(VALU_DEP_2)
	v_fma_f32 v4, v42, v44, -v4
	v_and_b32_e32 v42, 0x7f8, v38
	s_clause 0x1
	global_load_b64 v[36:37], v36, s[0:1] offset:4096
	global_load_b64 v[38:39], v40, s[0:1] offset:4096
	s_wait_loadcnt 0x11
	v_mul_f32_e32 v44, v65, v67
	v_lshlrev_b32_e32 v47, 3, v47
	v_and_b32_e32 v48, 0x7f8, v48
	global_load_b64 v[40:41], v42, s[0:1] offset:4096
	v_mul_f32_e32 v42, v55, v57
	s_wait_dscnt 0x1
	v_mul_f32_e32 v55, v19, v59
	v_mul_f32_e32 v57, v60, v63
	s_delay_alu instid0(VALU_DEP_3)
	v_fma_f32 v54, v54, v56, -v42
	v_mul_f32_e32 v42, v20, v59
	v_mul_f32_e32 v59, v64, v67
	v_fmac_f32_e32 v55, v20, v58
	v_fmac_f32_e32 v57, v61, v62
	v_add_f32_e32 v67, v89, v97
	v_fma_f32 v56, v19, v58, -v42
	v_mul_f32_e32 v42, v61, v63
	v_fmac_f32_e32 v59, v65, v66
	s_wait_dscnt 0x0
	v_add_f32_e32 v65, v22, v9
	s_wait_loadcnt 0x10
	v_mul_f32_e32 v61, v68, v71
	v_add_f32_e32 v63, v9, v95
	v_fma_f32 v58, v60, v62, -v42
	v_fma_f32 v60, v64, v66, -v44
	v_add_f32_e32 v66, v21, v72
	v_mul_lo_u32 v1, v1, v51
	v_lshrrev_b32_e32 v62, 13, v46
	v_dual_fmac_f32 v61, v69, v70 :: v_dual_add_f32 v64, v72, v96
	v_fma_f32 v63, -0.5, v63, v22
	s_delay_alu instid0(VALU_DEP_3)
	v_dual_add_f32 v67, v67, v85 :: v_dual_and_b32 v62, 0x7f8, v62
	v_dual_add_f32 v66, v66, v96 :: v_dual_and_b32 v19, 0xff, v1
	v_lshrrev_b32_e32 v20, 5, v1
	v_lshrrev_b32_e32 v1, 13, v1
	v_fma_f32 v64, -0.5, v64, v21
	v_sub_f32_e32 v9, v9, v95
	v_lshlrev_b32_e32 v19, 3, v19
	v_and_b32_e32 v43, 0x7f8, v20
	v_and_b32_e32 v1, 0x7f8, v1
	s_clause 0x2
	global_load_b64 v[19:20], v19, s[0:1]
	global_load_b64 v[42:43], v43, s[0:1] offset:2048
	global_load_b64 v[44:45], v1, s[0:1] offset:4096
	v_mul_f32_e32 v1, v69, v71
	v_add_f32_e32 v69, v84, v74
	s_delay_alu instid0(VALU_DEP_2)
	v_fma_f32 v1, v68, v70, -v1
	v_add_f32_e32 v70, v73, v84
	s_clause 0x2
	global_load_b64 v[46:47], v47, s[0:1]
	global_load_b64 v[48:49], v48, s[0:1] offset:2048
	global_load_b64 v[21:22], v62, s[0:1] offset:4096
	v_add_f32_e32 v62, v65, v95
	v_add_f32_e32 v65, v97, v85
	v_sub_f32_e32 v68, v97, v85
	v_fma_f32 v69, -0.5, v69, v73
	v_dual_sub_f32 v71, v72, v96 :: v_dual_add_f32 v70, v70, v74
	s_delay_alu instid0(VALU_DEP_4)
	v_fma_f32 v65, -0.5, v65, v89
	v_sub_f32_e32 v72, v84, v74
	s_wait_loadcnt 0x15
	v_mul_f32_e32 v74, v4, v77
	v_mul_f32_e32 v73, v83, v77
	v_fmamk_f32 v77, v68, 0xbf5db3d7, v69
	v_dual_fmac_f32 v69, 0x3f5db3d7, v68 :: v_dual_sub_f32 v68, v62, v67
	s_delay_alu instid0(VALU_DEP_4)
	v_fmac_f32_e32 v74, v76, v83
	v_fmamk_f32 v83, v72, 0x3f5db3d7, v65
	v_fmac_f32_e32 v65, 0xbf5db3d7, v72
	v_fma_f32 v73, v76, v4, -v73
	v_fmamk_f32 v76, v71, 0x3f5db3d7, v63
	v_fmac_f32_e32 v63, 0xbf5db3d7, v71
	v_fmamk_f32 v71, v9, 0xbf5db3d7, v64
	s_wait_loadcnt 0x14
	v_dual_fmac_f32 v64, 0x3f5db3d7, v9 :: v_dual_mul_f32 v9, v53, v79
	ds_load_b64 v[3:4], v3
	v_mul_f32_e32 v84, 0xbf5db3d7, v69
	s_lshl_b64 s[0:1], s[8:9], 3
	s_delay_alu instid0(SALU_CYCLE_1) | instskip(SKIP_3) | instid1(VALU_DEP_2)
	s_add_nc_u64 s[0:1], s[2:3], s[0:1]
	s_wait_loadcnt 0x12
	v_mul_f32_e32 v72, v75, v14
	v_mul_f32_e32 v14, v86, v14
	v_fma_f32 v72, v13, v86, -v72
	s_delay_alu instid0(VALU_DEP_2) | instskip(SKIP_4) | instid1(VALU_DEP_4)
	v_fmac_f32_e32 v14, v13, v75
	v_mul_f32_e32 v13, v50, v79
	v_fma_f32 v50, v78, v50, -v9
	v_dual_sub_f32 v75, v66, v70 :: v_dual_fmac_f32 v84, 0.5, v65
	v_add_f32_e32 v86, v82, v94
	v_fmac_f32_e32 v13, v78, v53
	v_dual_mul_f32 v53, -0.5, v83 :: v_dual_mul_f32 v78, -0.5, v77
	v_mul_f32_e32 v79, v52, v81
	v_mul_f32_e32 v81, v54, v81
	s_delay_alu instid0(VALU_DEP_3)
	v_fmac_f32_e32 v53, 0xbf5db3d7, v77
	s_wait_loadcnt 0x10
	v_mul_f32_e32 v77, v6, v16
	v_mul_f32_e32 v16, v5, v16
	v_dual_fmac_f32 v81, v80, v52 :: v_dual_mul_f32 v52, 0x3f5db3d7, v65
	v_fmac_f32_e32 v78, 0x3f5db3d7, v83
	s_delay_alu instid0(VALU_DEP_3) | instskip(SKIP_1) | instid1(VALU_DEP_4)
	v_fmac_f32_e32 v16, v6, v15
	v_add_f32_e32 v6, v98, v91
	v_fmac_f32_e32 v52, 0.5, v69
	v_fma_f32 v65, v5, v15, -v77
	s_wait_loadcnt 0xe
	v_mul_f32_e32 v15, v7, v18
	v_dual_mul_f32 v5, v8, v18 :: v_dual_sub_f32 v18, v94, v56
	s_wait_dscnt 0x0
	v_add_f32_e32 v77, v3, v99
	v_fma_f32 v83, -0.5, v6, v4
	v_dual_fmac_f32 v15, v8, v17 :: v_dual_add_f32 v8, v99, v92
	v_mul_f32_e32 v9, v75, v13
	v_fma_f32 v7, v7, v17, -v5
	v_dual_add_f32 v5, v94, v56 :: v_dual_add_f32 v6, v100, v93
	s_delay_alu instid0(VALU_DEP_4)
	v_fma_f32 v8, -0.5, v8, v3
	v_dual_add_f32 v3, v4, v98 :: v_dual_add_f32 v56, v86, v56
	v_dual_add_f32 v4, v93, v55 :: v_dual_mul_f32 v69, v68, v13
	v_sub_f32_e32 v13, v99, v92
	v_sub_f32_e32 v17, v93, v55
	;; [unrolled: 1-line block ×3, first 2 shown]
	v_dual_fmac_f32 v9, v68, v50 :: v_dual_sub_f32 v68, v63, v84
	v_fma_f32 v82, -0.5, v5, v82
	v_sub_f32_e32 v5, v64, v52
	v_fma_f32 v87, -0.5, v4, v100
	s_wait_loadcnt 0xc
	v_mul_f32_e32 v88, v24, v26
	v_dual_mul_f32 v26, v23, v26 :: v_dual_add_f32 v53, v76, v53
	v_sub_f32_e32 v76, v71, v78
	v_dual_add_f32 v71, v71, v78 :: v_dual_sub_f32 v78, v98, v91
	s_delay_alu instid0(VALU_DEP_3) | instskip(NEXT) | instid1(VALU_DEP_3)
	v_dual_fmac_f32 v26, v24, v25 :: v_dual_add_f32 v3, v3, v91
	v_dual_mul_f32 v4, v76, v74 :: v_dual_add_f32 v77, v77, v92
	v_mul_f32_e32 v74, v85, v74
	v_fma_f32 v23, v23, v25, -v88
	s_wait_loadcnt 0x9
	v_mul_f32_e32 v24, v57, v31
	v_mul_f32_e32 v25, v58, v31
	v_fmamk_f32 v31, v13, 0x3f5db3d7, v83
	v_fmac_f32_e32 v83, 0xbf5db3d7, v13
	v_fmamk_f32 v13, v18, 0x3f5db3d7, v87
	v_dual_fmac_f32 v87, 0xbf5db3d7, v18 :: v_dual_fmamk_f32 v18, v17, 0xbf5db3d7, v82
	v_dual_add_f32 v55, v6, v55 :: v_dual_mul_f32 v6, v5, v14
	v_mul_f32_e32 v14, v68, v14
	v_fmac_f32_e32 v82, 0x3f5db3d7, v17
	v_fmamk_f32 v17, v78, 0xbf5db3d7, v8
	v_fmac_f32_e32 v8, 0x3f5db3d7, v78
	v_sub_f32_e32 v78, v3, v55
	v_dual_add_f32 v55, v3, v55 :: v_dual_fmac_f32 v4, v85, v73
	v_sub_f32_e32 v86, v77, v56
	v_add_f32_e32 v56, v77, v56
	v_fma_f32 v3, v76, v73, -v74
	v_fmac_f32_e32 v6, v68, v72
	v_fma_f32 v5, v5, v72, -v14
	v_mul_f32_e32 v14, v59, v33
	v_dual_mul_f32 v33, v60, v33 :: v_dual_mul_f32 v68, v61, v35
	s_wait_loadcnt 0x8
	v_dual_mul_f32 v35, v1, v35 :: v_dual_mul_f32 v72, v16, v37
	s_wait_loadcnt 0x7
	v_mul_f32_e32 v73, v15, v39
	v_mul_f32_e32 v37, v65, v37
	s_wait_loadcnt 0x6
	v_dual_mul_f32 v39, v7, v39 :: v_dual_mul_f32 v74, v26, v41
	v_fma_f32 v24, v30, v58, -v24
	v_dual_mul_f32 v41, v23, v41 :: v_dual_mul_f32 v76, 0x3f5db3d7, v87
	v_fmac_f32_e32 v25, v30, v57
	v_dual_mul_f32 v30, -0.5, v13 :: v_dual_mul_f32 v57, -0.5, v18
	v_mul_f32_e32 v58, 0xbf5db3d7, v82
	v_fma_f32 v60, v32, v60, -v14
	v_dual_fmac_f32 v33, v32, v59 :: v_dual_fmac_f32 v76, 0.5, v82
	s_delay_alu instid0(VALU_DEP_3)
	v_dual_fmac_f32 v35, v34, v61 :: v_dual_fmac_f32 v58, 0.5, v87
	v_dual_fmac_f32 v37, v36, v16 :: v_dual_fmac_f32 v30, 0xbf5db3d7, v18
	v_dual_fmac_f32 v39, v38, v15 :: v_dual_mul_f32 v14, v56, v25
	v_fmac_f32_e32 v57, 0x3f5db3d7, v13
	v_fma_f32 v1, v34, v1, -v68
	v_fma_f32 v32, v36, v65, -v72
	;; [unrolled: 1-line block ×3, first 2 shown]
	v_fmac_f32_e32 v14, v55, v24
	v_fma_f32 v34, v40, v23, -v74
	v_mul_f32_e32 v15, v55, v25
	v_sub_f32_e32 v23, v31, v30
	v_dual_sub_f32 v25, v17, v57 :: v_dual_add_f32 v30, v31, v30
	v_sub_f32_e32 v36, v83, v58
	v_dual_fmac_f32 v41, v40, v26 :: v_dual_mul_f32 v16, v86, v37
	v_dual_mul_f32 v18, v78, v37 :: v_dual_sub_f32 v37, v8, v76
	v_add_f32_e32 v38, v17, v57
	v_add_f32_e32 v8, v8, v76
	v_fma_f32 v13, v56, v24, -v15
	v_add_f32_e32 v40, v83, v58
	v_dual_fmac_f32 v16, v78, v32 :: v_dual_mul_f32 v17, v23, v33
	v_fma_f32 v15, v86, v32, -v18
	v_dual_mul_f32 v24, v37, v35 :: v_dual_mul_f32 v31, v8, v41
	v_mul_f32_e32 v18, v25, v33
	v_mul_f32_e32 v32, v36, v35
	;; [unrolled: 1-line block ×3, first 2 shown]
	v_dual_mul_f32 v26, v38, v39 :: v_dual_mul_f32 v35, v40, v41
	v_fma_f32 v17, v25, v60, -v17
	v_dual_fmac_f32 v31, v40, v34 :: v_dual_fmac_f32 v18, v23, v60
	s_delay_alu instid0(VALU_DEP_3)
	v_fmac_f32_e32 v26, v30, v7
	v_fma_f32 v25, v38, v7, -v33
	v_fma_f32 v7, v80, v54, -v79
	v_mul_f32_e32 v33, v71, v81
	v_fmac_f32_e32 v24, v36, v1
	v_fma_f32 v23, v37, v1, -v32
	s_wait_loadcnt 0x1
	v_dual_mul_f32 v1, v20, v43 :: v_dual_mul_f32 v38, v46, v49
	v_fma_f32 v30, v8, v34, -v35
	v_mad_co_u64_u32 v[36:37], null, s4, v27, 0
	s_delay_alu instid0(VALU_DEP_3) | instskip(NEXT) | instid1(VALU_DEP_4)
	v_fma_f32 v1, v19, v42, -v1
	v_fmac_f32_e32 v38, v47, v48
	v_mul_f32_e32 v34, v19, v43
	v_dual_mul_f32 v19, v47, v49 :: v_dual_add_f32 v40, v64, v52
	v_add_f32_e32 v41, v63, v84
	v_fmac_f32_e32 v33, v53, v7
	v_fma_f32 v8, v75, v50, -v69
	s_delay_alu instid0(VALU_DEP_4) | instskip(SKIP_1) | instid1(VALU_DEP_1)
	v_fma_f32 v19, v46, v48, -v19
	s_wait_loadcnt 0x0
	v_mul_f32_e32 v43, v19, v22
	s_delay_alu instid0(VALU_DEP_1) | instskip(SKIP_2) | instid1(VALU_DEP_1)
	v_fmac_f32_e32 v43, v21, v38
	v_fmac_f32_e32 v34, v20, v42
	v_mul_f32_e32 v32, v53, v81
	v_fma_f32 v32, v71, v7, -v32
	v_mul_f32_e32 v7, v1, v45
	s_delay_alu instid0(VALU_DEP_1) | instskip(SKIP_1) | instid1(VALU_DEP_2)
	v_dual_fmac_f32 v7, v44, v34 :: v_dual_mul_f32 v20, v34, v45
	v_mad_co_u64_u32 v[34:35], null, s6, v28, 0
	v_mul_f32_e32 v45, v41, v7
	s_delay_alu instid0(VALU_DEP_3) | instskip(SKIP_1) | instid1(VALU_DEP_4)
	v_fma_f32 v42, v44, v1, -v20
	v_dual_mul_f32 v20, v40, v7 :: v_dual_mov_b32 v7, v37
	v_dual_mul_f32 v22, v38, v22 :: v_dual_mov_b32 v1, v35
	s_delay_alu instid0(VALU_DEP_2) | instskip(NEXT) | instid1(VALU_DEP_2)
	v_fmac_f32_e32 v20, v41, v42
	v_mad_co_u64_u32 v[37:38], null, s7, v28, v[1:2]
	s_delay_alu instid0(VALU_DEP_4) | instskip(SKIP_2) | instid1(VALU_DEP_4)
	v_mad_co_u64_u32 v[27:28], null, s5, v27, v[7:8]
	v_add_f32_e32 v46, v62, v67
	v_mad_co_u64_u32 v[38:39], null, s4, v51, 0
	v_dual_add_f32 v44, v66, v70 :: v_dual_mov_b32 v35, v37
	v_fma_f32 v21, v21, v19, -v22
	v_mov_b32_e32 v37, v27
	v_mul_f32_e32 v1, v46, v43
	s_delay_alu instid0(VALU_DEP_4) | instskip(SKIP_3) | instid1(VALU_DEP_4)
	v_mul_f32_e32 v22, v44, v43
	v_fma_f32 v19, v40, v42, -v45
	v_mad_co_u64_u32 v[40:41], null, s4, v12, 0
	v_lshlrev_b64_e32 v[27:28], 3, v[34:35]
	v_fmac_f32_e32 v22, v46, v21
	v_fma_f32 v21, v44, v21, -v1
	v_mov_b32_e32 v1, v39
	v_mad_co_u64_u32 v[42:43], null, s4, v10, 0
	v_add_co_u32 v44, vcc_lo, s0, v27
	s_delay_alu instid0(VALU_DEP_3) | instskip(SKIP_4) | instid1(VALU_DEP_4)
	v_mad_co_u64_u32 v[34:35], null, s5, v51, v[1:2]
	v_mov_b32_e32 v1, v41
	s_wait_alu 0xfffd
	v_add_co_ci_u32_e32 v45, vcc_lo, s1, v28, vcc_lo
	v_lshlrev_b64_e32 v[27:28], 3, v[36:37]
	v_mov_b32_e32 v39, v34
	v_mad_co_u64_u32 v[34:35], null, s4, v11, 0
	s_delay_alu instid0(VALU_DEP_3) | instskip(NEXT) | instid1(VALU_DEP_3)
	v_add_co_u32 v27, vcc_lo, v44, v27
	v_lshlrev_b64_e32 v[36:37], 3, v[38:39]
	v_mad_co_u64_u32 v[38:39], null, s5, v12, v[1:2]
	s_wait_alu 0xfffd
	v_add_co_ci_u32_e32 v28, vcc_lo, v45, v28, vcc_lo
	v_mov_b32_e32 v1, v35
	s_delay_alu instid0(VALU_DEP_4) | instskip(SKIP_2) | instid1(VALU_DEP_3)
	v_add_co_u32 v35, vcc_lo, v44, v36
	s_wait_alu 0xfffd
	v_add_co_ci_u32_e32 v36, vcc_lo, v45, v37, vcc_lo
	v_mad_co_u64_u32 v[11:12], null, s5, v11, v[1:2]
	v_mov_b32_e32 v41, v38
	v_mad_co_u64_u32 v[37:38], null, s4, v2, 0
	v_mov_b32_e32 v1, v43
	s_clause 0x1
	global_store_b64 v[27:28], v[21:22], off
	global_store_b64 v[35:36], v[19:20], off
	v_mad_u32_u24 v21, 0xb4, v0, v29
	v_mov_b32_e32 v35, v11
	v_mad_co_u64_u32 v[10:11], null, s5, v10, v[1:2]
	s_delay_alu instid0(VALU_DEP_3) | instskip(SKIP_1) | instid1(VALU_DEP_2)
	v_dual_mov_b32 v1, v38 :: v_dual_add_nc_u32 v22, 0x90, v21
	v_add_nc_u32_e32 v27, 0xb4, v21
	v_mad_co_u64_u32 v[0:1], null, s5, v2, v[1:2]
	v_mad_co_u64_u32 v[1:2], null, s4, v21, 0
	s_delay_alu instid0(VALU_DEP_2) | instskip(SKIP_1) | instid1(VALU_DEP_3)
	v_dual_mov_b32 v43, v10 :: v_dual_mov_b32 v38, v0
	v_lshlrev_b64_e32 v[19:20], 3, v[40:41]
	v_mov_b32_e32 v0, v2
	s_delay_alu instid0(VALU_DEP_2) | instskip(SKIP_1) | instid1(VALU_DEP_3)
	v_add_co_u32 v11, vcc_lo, v44, v19
	s_wait_alu 0xfffd
	v_add_co_ci_u32_e32 v12, vcc_lo, v45, v20, vcc_lo
	v_lshlrev_b64_e32 v[19:20], 3, v[34:35]
	global_store_b64 v[11:12], v[32:33], off
	v_lshlrev_b64_e32 v[10:11], 3, v[42:43]
	v_add_co_u32 v19, vcc_lo, v44, v19
	s_wait_alu 0xfffd
	v_add_co_ci_u32_e32 v20, vcc_lo, v45, v20, vcc_lo
	global_store_b64 v[19:20], v[8:9], off
	v_mad_co_u64_u32 v[19:20], null, s5, v21, v[0:1]
	v_lshlrev_b64_e32 v[7:8], 3, v[37:38]
	v_add_nc_u32_e32 v20, 36, v21
	v_add_co_u32 v9, vcc_lo, v44, v10
	s_wait_alu 0xfffd
	v_add_co_ci_u32_e32 v10, vcc_lo, v45, v11, vcc_lo
	s_delay_alu instid0(VALU_DEP_3)
	v_mad_co_u64_u32 v[11:12], null, s4, v20, 0
	v_add_co_u32 v7, vcc_lo, v44, v7
	s_wait_alu 0xfffd
	v_add_co_ci_u32_e32 v8, vcc_lo, v45, v8, vcc_lo
	v_mov_b32_e32 v2, v19
	global_store_b64 v[9:10], v[5:6], off
	v_add_nc_u32_e32 v10, 0x6c, v21
	v_add_nc_u32_e32 v9, 0x48, v21
	global_store_b64 v[7:8], v[3:4], off
	v_mov_b32_e32 v4, v12
	v_lshlrev_b64_e32 v[0:1], 3, v[1:2]
	v_mad_co_u64_u32 v[5:6], null, s4, v10, 0
	v_mad_co_u64_u32 v[2:3], null, s4, v9, 0
	s_delay_alu instid0(VALU_DEP_3) | instskip(SKIP_1) | instid1(VALU_DEP_4)
	v_add_co_u32 v0, vcc_lo, v44, v0
	s_wait_alu 0xfffd
	v_add_co_ci_u32_e32 v1, vcc_lo, v45, v1, vcc_lo
	s_delay_alu instid0(VALU_DEP_4) | instskip(NEXT) | instid1(VALU_DEP_4)
	v_mad_co_u64_u32 v[7:8], null, s5, v20, v[4:5]
	v_mad_co_u64_u32 v[3:4], null, s5, v9, v[3:4]
	v_mov_b32_e32 v4, v6
	v_mad_co_u64_u32 v[8:9], null, s4, v22, 0
	global_store_b64 v[0:1], v[13:14], off
	v_mad_co_u64_u32 v[19:20], null, s5, v10, v[4:5]
	v_mad_co_u64_u32 v[20:21], null, s4, v27, 0
	v_mov_b32_e32 v0, v9
	v_lshlrev_b64_e32 v[2:3], 3, v[2:3]
	s_delay_alu instid0(VALU_DEP_4) | instskip(NEXT) | instid1(VALU_DEP_3)
	v_mov_b32_e32 v6, v19
	v_mad_co_u64_u32 v[0:1], null, s5, v22, v[0:1]
	v_dual_mov_b32 v12, v7 :: v_dual_mov_b32 v1, v21
	s_delay_alu instid0(VALU_DEP_3) | instskip(NEXT) | instid1(VALU_DEP_2)
	v_lshlrev_b64_e32 v[4:5], 3, v[5:6]
	v_lshlrev_b64_e32 v[9:10], 3, v[11:12]
	s_delay_alu instid0(VALU_DEP_3) | instskip(NEXT) | instid1(VALU_DEP_2)
	v_mad_co_u64_u32 v[13:14], null, s5, v27, v[1:2]
	v_add_co_u32 v11, vcc_lo, v44, v9
	v_mov_b32_e32 v9, v0
	s_wait_alu 0xfffd
	s_delay_alu instid0(VALU_DEP_4)
	v_add_co_ci_u32_e32 v12, vcc_lo, v45, v10, vcc_lo
	v_add_co_u32 v0, vcc_lo, v44, v2
	v_mov_b32_e32 v21, v13
	s_wait_alu 0xfffd
	v_add_co_ci_u32_e32 v1, vcc_lo, v45, v3, vcc_lo
	v_lshlrev_b64_e32 v[2:3], 3, v[8:9]
	v_add_co_u32 v4, vcc_lo, v44, v4
	v_lshlrev_b64_e32 v[6:7], 3, v[20:21]
	s_wait_alu 0xfffd
	v_add_co_ci_u32_e32 v5, vcc_lo, v45, v5, vcc_lo
	s_delay_alu instid0(VALU_DEP_4)
	v_add_co_u32 v2, vcc_lo, v44, v2
	s_wait_alu 0xfffd
	v_add_co_ci_u32_e32 v3, vcc_lo, v45, v3, vcc_lo
	v_add_co_u32 v6, vcc_lo, v44, v6
	s_wait_alu 0xfffd
	v_add_co_ci_u32_e32 v7, vcc_lo, v45, v7, vcc_lo
	s_clause 0x4
	global_store_b64 v[11:12], v[30:31], off
	global_store_b64 v[0:1], v[25:26], off
	;; [unrolled: 1-line block ×5, first 2 shown]
.LBB0_16:
	s_nop 0
	s_sendmsg sendmsg(MSG_DEALLOC_VGPRS)
	s_endpgm
	.section	.rodata,"a",@progbits
	.p2align	6, 0x0
	.amdhsa_kernel fft_rtc_fwd_len216_factors_2_2_3_3_6_wgs_144_tpt_18_dim3_sp_ip_CI_sbcc_twdbase8_3step_dirReg
		.amdhsa_group_segment_fixed_size 0
		.amdhsa_private_segment_fixed_size 0
		.amdhsa_kernarg_size 88
		.amdhsa_user_sgpr_count 2
		.amdhsa_user_sgpr_dispatch_ptr 0
		.amdhsa_user_sgpr_queue_ptr 0
		.amdhsa_user_sgpr_kernarg_segment_ptr 1
		.amdhsa_user_sgpr_dispatch_id 0
		.amdhsa_user_sgpr_private_segment_size 0
		.amdhsa_wavefront_size32 1
		.amdhsa_uses_dynamic_stack 0
		.amdhsa_enable_private_segment 0
		.amdhsa_system_sgpr_workgroup_id_x 1
		.amdhsa_system_sgpr_workgroup_id_y 0
		.amdhsa_system_sgpr_workgroup_id_z 0
		.amdhsa_system_sgpr_workgroup_info 0
		.amdhsa_system_vgpr_workitem_id 0
		.amdhsa_next_free_vgpr 101
		.amdhsa_next_free_sgpr 26
		.amdhsa_reserve_vcc 1
		.amdhsa_float_round_mode_32 0
		.amdhsa_float_round_mode_16_64 0
		.amdhsa_float_denorm_mode_32 3
		.amdhsa_float_denorm_mode_16_64 3
		.amdhsa_fp16_overflow 0
		.amdhsa_workgroup_processor_mode 1
		.amdhsa_memory_ordered 1
		.amdhsa_forward_progress 0
		.amdhsa_round_robin_scheduling 0
		.amdhsa_exception_fp_ieee_invalid_op 0
		.amdhsa_exception_fp_denorm_src 0
		.amdhsa_exception_fp_ieee_div_zero 0
		.amdhsa_exception_fp_ieee_overflow 0
		.amdhsa_exception_fp_ieee_underflow 0
		.amdhsa_exception_fp_ieee_inexact 0
		.amdhsa_exception_int_div_zero 0
	.end_amdhsa_kernel
	.text
.Lfunc_end0:
	.size	fft_rtc_fwd_len216_factors_2_2_3_3_6_wgs_144_tpt_18_dim3_sp_ip_CI_sbcc_twdbase8_3step_dirReg, .Lfunc_end0-fft_rtc_fwd_len216_factors_2_2_3_3_6_wgs_144_tpt_18_dim3_sp_ip_CI_sbcc_twdbase8_3step_dirReg
                                        ; -- End function
	.section	.AMDGPU.csdata,"",@progbits
; Kernel info:
; codeLenInByte = 9344
; NumSgprs: 28
; NumVgprs: 101
; ScratchSize: 0
; MemoryBound: 0
; FloatMode: 240
; IeeeMode: 1
; LDSByteSize: 0 bytes/workgroup (compile time only)
; SGPRBlocks: 3
; VGPRBlocks: 12
; NumSGPRsForWavesPerEU: 28
; NumVGPRsForWavesPerEU: 101
; Occupancy: 12
; WaveLimiterHint : 1
; COMPUTE_PGM_RSRC2:SCRATCH_EN: 0
; COMPUTE_PGM_RSRC2:USER_SGPR: 2
; COMPUTE_PGM_RSRC2:TRAP_HANDLER: 0
; COMPUTE_PGM_RSRC2:TGID_X_EN: 1
; COMPUTE_PGM_RSRC2:TGID_Y_EN: 0
; COMPUTE_PGM_RSRC2:TGID_Z_EN: 0
; COMPUTE_PGM_RSRC2:TIDIG_COMP_CNT: 0
	.text
	.p2alignl 7, 3214868480
	.fill 96, 4, 3214868480
	.type	__hip_cuid_c4a5dd878f6300be,@object ; @__hip_cuid_c4a5dd878f6300be
	.section	.bss,"aw",@nobits
	.globl	__hip_cuid_c4a5dd878f6300be
__hip_cuid_c4a5dd878f6300be:
	.byte	0                               ; 0x0
	.size	__hip_cuid_c4a5dd878f6300be, 1

	.ident	"AMD clang version 19.0.0git (https://github.com/RadeonOpenCompute/llvm-project roc-6.4.0 25133 c7fe45cf4b819c5991fe208aaa96edf142730f1d)"
	.section	".note.GNU-stack","",@progbits
	.addrsig
	.addrsig_sym __hip_cuid_c4a5dd878f6300be
	.amdgpu_metadata
---
amdhsa.kernels:
  - .args:
      - .actual_access:  read_only
        .address_space:  global
        .offset:         0
        .size:           8
        .value_kind:     global_buffer
      - .address_space:  global
        .offset:         8
        .size:           8
        .value_kind:     global_buffer
      - .actual_access:  read_only
        .address_space:  global
        .offset:         16
        .size:           8
        .value_kind:     global_buffer
      - .actual_access:  read_only
        .address_space:  global
        .offset:         24
        .size:           8
        .value_kind:     global_buffer
      - .offset:         32
        .size:           8
        .value_kind:     by_value
      - .actual_access:  read_only
        .address_space:  global
        .offset:         40
        .size:           8
        .value_kind:     global_buffer
      - .actual_access:  read_only
        .address_space:  global
        .offset:         48
        .size:           8
        .value_kind:     global_buffer
      - .offset:         56
        .size:           4
        .value_kind:     by_value
      - .actual_access:  read_only
        .address_space:  global
        .offset:         64
        .size:           8
        .value_kind:     global_buffer
      - .actual_access:  read_only
        .address_space:  global
        .offset:         72
        .size:           8
        .value_kind:     global_buffer
      - .address_space:  global
        .offset:         80
        .size:           8
        .value_kind:     global_buffer
    .group_segment_fixed_size: 0
    .kernarg_segment_align: 8
    .kernarg_segment_size: 88
    .language:       OpenCL C
    .language_version:
      - 2
      - 0
    .max_flat_workgroup_size: 144
    .name:           fft_rtc_fwd_len216_factors_2_2_3_3_6_wgs_144_tpt_18_dim3_sp_ip_CI_sbcc_twdbase8_3step_dirReg
    .private_segment_fixed_size: 0
    .sgpr_count:     28
    .sgpr_spill_count: 0
    .symbol:         fft_rtc_fwd_len216_factors_2_2_3_3_6_wgs_144_tpt_18_dim3_sp_ip_CI_sbcc_twdbase8_3step_dirReg.kd
    .uniform_work_group_size: 1
    .uses_dynamic_stack: false
    .vgpr_count:     101
    .vgpr_spill_count: 0
    .wavefront_size: 32
    .workgroup_processor_mode: 1
amdhsa.target:   amdgcn-amd-amdhsa--gfx1201
amdhsa.version:
  - 1
  - 2
...

	.end_amdgpu_metadata
